;; amdgpu-corpus repo=ROCm/rocFFT kind=compiled arch=gfx1100 opt=O3
	.text
	.amdgcn_target "amdgcn-amd-amdhsa--gfx1100"
	.amdhsa_code_object_version 6
	.protected	bluestein_single_back_len845_dim1_dp_op_CI_CI ; -- Begin function bluestein_single_back_len845_dim1_dp_op_CI_CI
	.globl	bluestein_single_back_len845_dim1_dp_op_CI_CI
	.p2align	8
	.type	bluestein_single_back_len845_dim1_dp_op_CI_CI,@function
bluestein_single_back_len845_dim1_dp_op_CI_CI: ; @bluestein_single_back_len845_dim1_dp_op_CI_CI
; %bb.0:
	s_load_b128 s[16:19], s[0:1], 0x28
	v_mul_u32_u24_e32 v1, 0x3f1, v0
	s_mov_b32 s2, exec_lo
	s_delay_alu instid0(VALU_DEP_1) | instskip(NEXT) | instid1(VALU_DEP_1)
	v_lshrrev_b32_e32 v1, 16, v1
	v_mad_u64_u32 v[208:209], null, s15, 3, v[1:2]
	v_mov_b32_e32 v209, 0
                                        ; kill: def $vgpr2 killed $sgpr0 killed $exec
	s_waitcnt lgkmcnt(0)
	s_delay_alu instid0(VALU_DEP_1)
	v_cmpx_gt_u64_e64 s[16:17], v[208:209]
	s_cbranch_execz .LBB0_10
; %bb.1:
	s_clause 0x1
	s_load_b128 s[4:7], s[0:1], 0x18
	s_load_b128 s[8:11], s[0:1], 0x0
	v_mul_lo_u16 v1, 0x41, v1
	s_mov_b32 s24, 0x66966769
	s_mov_b32 s31, 0xbfddbe06
	;; [unrolled: 1-line block ×4, first 2 shown]
	v_sub_nc_u16 v20, v0, v1
	s_mov_b32 s26, 0x42a4c3d2
	s_mov_b32 s22, 0x2ef20147
	;; [unrolled: 1-line block ×4, first 2 shown]
	v_and_b32_e32 v211, 0xffff, v20
	s_mov_b32 s16, 0xebaa3ed8
	s_mov_b32 s27, 0xbfea55e2
	;; [unrolled: 1-line block ×4, first 2 shown]
	v_lshlrev_b32_e32 v39, 4, v211
	s_mov_b32 s29, 0x3fec55a7
	s_mov_b32 s17, 0x3fbedb7d
	s_waitcnt lgkmcnt(0)
	s_load_b128 s[12:15], s[4:5], 0x0
	s_mov_b32 s37, 0x3fe5384d
	s_mov_b32 s36, s20
	;; [unrolled: 1-line block ×6, first 2 shown]
	s_waitcnt lgkmcnt(0)
	v_mad_u64_u32 v[0:1], null, s14, v208, 0
	v_mad_u64_u32 v[2:3], null, s12, v211, 0
	s_mul_i32 s2, s13, 0x410
	s_mul_hi_u32 s4, s12, 0x410
	s_mul_i32 s3, s12, 0x410
	s_add_i32 s2, s4, s2
	v_add_co_u32 v222, s4, s8, v39
	s_delay_alu instid0(VALU_DEP_2) | instskip(SKIP_3) | instid1(VALU_DEP_2)
	v_mad_u64_u32 v[4:5], null, s15, v208, v[1:2]
	v_add_co_ci_u32_e64 v213, null, s9, 0, s4
	s_mov_b32 s14, 0x4bc48dbf
	s_mov_b32 s15, 0xbfcea1e5
	v_mad_u64_u32 v[5:6], null, s13, v211, v[3:4]
	v_mov_b32_e32 v1, v4
	s_mov_b32 s12, 0xb2365da1
	s_mov_b32 s13, 0xbfd6b1d8
	s_delay_alu instid0(VALU_DEP_1) | instskip(NEXT) | instid1(VALU_DEP_3)
	v_lshlrev_b64 v[0:1], 4, v[0:1]
	v_mov_b32_e32 v3, v5
	s_delay_alu instid0(VALU_DEP_2) | instskip(NEXT) | instid1(VALU_DEP_2)
	v_add_co_u32 v0, vcc_lo, s18, v0
	v_lshlrev_b64 v[2:3], 4, v[2:3]
	s_delay_alu instid0(VALU_DEP_4) | instskip(SKIP_2) | instid1(VALU_DEP_2)
	v_add_co_ci_u32_e32 v1, vcc_lo, s19, v1, vcc_lo
	s_mov_b32 s18, 0x1ea71119
	s_mov_b32 s19, 0x3fe22d96
	v_add_co_u32 v4, vcc_lo, v0, v2
	s_delay_alu instid0(VALU_DEP_2) | instskip(NEXT) | instid1(VALU_DEP_2)
	v_add_co_ci_u32_e32 v5, vcc_lo, v1, v3, vcc_lo
	v_add_co_u32 v8, vcc_lo, v4, s3
	s_delay_alu instid0(VALU_DEP_2)
	v_add_co_ci_u32_e32 v9, vcc_lo, s2, v5, vcc_lo
	global_load_b128 v[0:3], v[4:5], off
	s_clause 0x1
	global_load_b128 v[27:30], v39, s[8:9]
	global_load_b128 v[23:26], v39, s[8:9] offset:1040
	global_load_b128 v[4:7], v[8:9], off
	v_add_co_u32 v12, vcc_lo, v8, s3
	v_add_co_ci_u32_e32 v13, vcc_lo, s2, v9, vcc_lo
	global_load_b128 v[8:11], v[12:13], off
	global_load_b128 v[31:34], v39, s[8:9] offset:2080
	s_waitcnt vmcnt(4)
	scratch_store_b128 off, v[27:30], off offset:20 ; 16-byte Folded Spill
	s_waitcnt vmcnt(3)
	scratch_store_b128 off, v[23:26], off offset:4 ; 16-byte Folded Spill
	v_mul_f64 v[14:15], v[2:3], v[29:30]
	s_waitcnt vmcnt(2)
	v_mul_f64 v[18:19], v[6:7], v[25:26]
	v_mul_f64 v[16:17], v[0:1], v[29:30]
	;; [unrolled: 1-line block ×3, first 2 shown]
	s_delay_alu instid0(VALU_DEP_4)
	v_fma_f64 v[0:1], v[0:1], v[27:28], v[14:15]
	s_waitcnt vmcnt(0)
	v_mul_f64 v[14:15], v[10:11], v[33:34]
	v_fma_f64 v[4:5], v[4:5], v[23:24], v[18:19]
	v_add_co_u32 v18, vcc_lo, v12, s3
	v_add_co_ci_u32_e32 v19, vcc_lo, s2, v13, vcc_lo
	v_fma_f64 v[2:3], v[2:3], v[27:28], -v[16:17]
	global_load_b128 v[27:30], v39, s[8:9] offset:3120
	v_mul_f64 v[16:17], v[8:9], v[33:34]
	v_fma_f64 v[6:7], v[6:7], v[23:24], -v[21:22]
	v_add_co_u32 v21, vcc_lo, v18, s3
	v_add_co_ci_u32_e32 v22, vcc_lo, s2, v19, vcc_lo
	scratch_store_b128 off, v[31:34], off offset:36 ; 16-byte Folded Spill
	s_mov_b32 s8, 0xd0032e0c
	s_mov_b32 s9, 0xbfe7f3cc
	v_fma_f64 v[8:9], v[8:9], v[31:32], v[14:15]
	global_load_b128 v[12:15], v[18:19], off
	v_fma_f64 v[10:11], v[10:11], v[31:32], -v[16:17]
	global_load_b128 v[16:19], v[21:22], off
	s_waitcnt vmcnt(2)
	scratch_store_b128 off, v[27:30], off offset:52 ; 16-byte Folded Spill
	s_waitcnt vmcnt(1)
	v_mul_f64 v[25:26], v[12:13], v[29:30]
	v_mul_f64 v[23:24], v[14:15], v[29:30]
	s_delay_alu instid0(VALU_DEP_2)
	v_fma_f64 v[14:15], v[14:15], v[27:28], -v[25:26]
	v_add_co_u32 v25, vcc_lo, 0x1000, v222
	v_add_co_ci_u32_e32 v26, vcc_lo, 0, v213, vcc_lo
	s_clause 0x1
	global_load_b128 v[29:32], v[25:26], off offset:64
	global_load_b128 v[33:36], v[25:26], off offset:1104
	v_fma_f64 v[12:13], v[12:13], v[27:28], v[23:24]
	s_waitcnt vmcnt(1)
	v_mul_f64 v[27:28], v[16:17], v[31:32]
	v_mul_f64 v[23:24], v[18:19], v[31:32]
	scratch_store_b128 off, v[29:32], off offset:68 ; 16-byte Folded Spill
	s_waitcnt vmcnt(0)
	scratch_store_b128 off, v[33:36], off offset:84 ; 16-byte Folded Spill
	v_fma_f64 v[18:19], v[18:19], v[29:30], -v[27:28]
	v_add_co_u32 v27, vcc_lo, v21, s3
	v_add_co_ci_u32_e32 v28, vcc_lo, s2, v22, vcc_lo
	v_fma_f64 v[16:17], v[16:17], v[29:30], v[23:24]
	global_load_b128 v[21:24], v[27:28], off
	s_waitcnt vmcnt(0)
	v_mul_f64 v[29:30], v[23:24], v[35:36]
	v_mul_f64 v[31:32], v[21:22], v[35:36]
	s_delay_alu instid0(VALU_DEP_2)
	v_fma_f64 v[21:22], v[21:22], v[33:34], v[29:30]
	v_add_co_u32 v29, vcc_lo, v27, s3
	v_add_co_ci_u32_e32 v30, vcc_lo, s2, v28, vcc_lo
	s_clause 0x1
	global_load_b128 v[35:38], v[25:26], off offset:2144
	global_load_b128 v[40:43], v[25:26], off offset:3184
	global_load_b128 v[25:28], v[29:30], off
	v_fma_f64 v[23:24], v[23:24], v[33:34], -v[31:32]
	s_waitcnt vmcnt(2)
	scratch_store_b128 off, v[35:38], off offset:100 ; 16-byte Folded Spill
	s_waitcnt vmcnt(1)
	scratch_store_b128 off, v[40:43], off offset:116 ; 16-byte Folded Spill
	s_waitcnt vmcnt(0)
	v_mul_f64 v[33:34], v[25:26], v[37:38]
	v_mul_f64 v[31:32], v[27:28], v[37:38]
	s_delay_alu instid0(VALU_DEP_2) | instskip(SKIP_2) | instid1(VALU_DEP_4)
	v_fma_f64 v[27:28], v[27:28], v[35:36], -v[33:34]
	v_add_co_u32 v33, vcc_lo, v29, s3
	v_add_co_ci_u32_e32 v34, vcc_lo, s2, v30, vcc_lo
	v_fma_f64 v[25:26], v[25:26], v[35:36], v[31:32]
	global_load_b128 v[29:32], v[33:34], off
	v_add_co_u32 v33, vcc_lo, v33, s3
	v_add_co_ci_u32_e32 v34, vcc_lo, s2, v34, vcc_lo
	s_waitcnt vmcnt(0)
	v_mul_f64 v[35:36], v[31:32], v[42:43]
	v_mul_f64 v[37:38], v[29:30], v[42:43]
	s_delay_alu instid0(VALU_DEP_2) | instskip(SKIP_2) | instid1(VALU_DEP_4)
	v_fma_f64 v[29:30], v[29:30], v[40:41], v[35:36]
	v_add_co_u32 v35, vcc_lo, 0x2000, v222
	v_add_co_ci_u32_e32 v36, vcc_lo, 0, v213, vcc_lo
	v_fma_f64 v[31:32], v[31:32], v[40:41], -v[37:38]
	global_load_b128 v[40:43], v[33:34], off
	s_clause 0x1
	global_load_b128 v[46:49], v[35:36], off offset:128
	global_load_b128 v[58:61], v[35:36], off offset:1168
	v_add_co_u32 v33, vcc_lo, v33, s3
	v_add_co_ci_u32_e32 v34, vcc_lo, s2, v34, vcc_lo
	s_waitcnt vmcnt(1)
	v_mul_f64 v[37:38], v[42:43], v[48:49]
	v_mul_f64 v[44:45], v[40:41], v[48:49]
	scratch_store_b128 off, v[46:49], off offset:132 ; 16-byte Folded Spill
	s_waitcnt vmcnt(0)
	scratch_store_b128 off, v[58:61], off offset:148 ; 16-byte Folded Spill
	v_fma_f64 v[52:53], v[40:41], v[46:47], v[37:38]
	v_fma_f64 v[54:55], v[42:43], v[46:47], -v[44:45]
	global_load_b128 v[40:43], v[33:34], off
	v_add_co_u32 v33, vcc_lo, v33, s3
	v_add_co_ci_u32_e32 v34, vcc_lo, s2, v34, vcc_lo
	s_waitcnt vmcnt(0)
	v_mul_f64 v[37:38], v[42:43], v[60:61]
	v_mul_f64 v[44:45], v[40:41], v[60:61]
	s_delay_alu instid0(VALU_DEP_2) | instskip(NEXT) | instid1(VALU_DEP_2)
	v_fma_f64 v[56:57], v[40:41], v[58:59], v[37:38]
	v_fma_f64 v[58:59], v[42:43], v[58:59], -v[44:45]
	s_clause 0x1
	global_load_b128 v[40:43], v[35:36], off offset:2208
	global_load_b128 v[44:47], v[35:36], off offset:3248
	global_load_b128 v[48:51], v[33:34], off
	v_add_co_u32 v33, vcc_lo, v33, s3
	v_add_co_ci_u32_e32 v34, vcc_lo, s2, v34, vcc_lo
	s_waitcnt vmcnt(2)
	scratch_store_b128 off, v[40:43], off offset:164 ; 16-byte Folded Spill
	s_waitcnt vmcnt(1)
	scratch_store_b128 off, v[44:47], off offset:180 ; 16-byte Folded Spill
	s_waitcnt vmcnt(0)
	v_mul_f64 v[35:36], v[50:51], v[42:43]
	v_mul_f64 v[37:38], v[48:49], v[42:43]
	s_delay_alu instid0(VALU_DEP_2) | instskip(NEXT) | instid1(VALU_DEP_2)
	v_fma_f64 v[60:61], v[48:49], v[40:41], v[35:36]
	v_fma_f64 v[62:63], v[50:51], v[40:41], -v[37:38]
	global_load_b128 v[48:51], v[33:34], off
	v_add_co_u32 v33, vcc_lo, v33, s3
	v_add_co_ci_u32_e32 v34, vcc_lo, s2, v34, vcc_lo
	v_add_co_u32 v160, vcc_lo, 0x3000, v222
	v_add_co_ci_u32_e32 v161, vcc_lo, 0, v213, vcc_lo
	global_load_b128 v[68:71], v[33:34], off
	global_load_b128 v[40:43], v[160:161], off offset:192
	s_mov_b32 s2, 0x93053d00
	s_mov_b32 s3, 0xbfef11f4
	v_cmp_gt_u16_e32 vcc_lo, 39, v20
	s_waitcnt vmcnt(2)
	v_mul_f64 v[35:36], v[50:51], v[46:47]
	v_mul_f64 v[37:38], v[48:49], v[46:47]
	s_waitcnt vmcnt(0)
	v_mul_f64 v[33:34], v[70:71], v[42:43]
	scratch_store_b128 off, v[40:43], off offset:196 ; 16-byte Folded Spill
	v_fma_f64 v[64:65], v[48:49], v[44:45], v[35:36]
	v_mul_f64 v[35:36], v[68:69], v[42:43]
	v_fma_f64 v[66:67], v[50:51], v[44:45], -v[37:38]
	v_fma_f64 v[68:69], v[68:69], v[40:41], v[33:34]
	v_mul_hi_u32 v33, 0xaaaaaaab, v208
	s_delay_alu instid0(VALU_DEP_1) | instskip(NEXT) | instid1(VALU_DEP_1)
	v_lshrrev_b32_e32 v33, 1, v33
	v_lshl_add_u32 v33, v33, 1, v33
	s_delay_alu instid0(VALU_DEP_1) | instskip(NEXT) | instid1(VALU_DEP_1)
	v_sub_nc_u32_e32 v33, v208, v33
	v_mul_u32_u24_e32 v33, 0x34d, v33
	v_fma_f64 v[70:71], v[70:71], v[40:41], -v[35:36]
	s_delay_alu instid0(VALU_DEP_2) | instskip(NEXT) | instid1(VALU_DEP_1)
	v_lshlrev_b32_e32 v40, 4, v33
	v_add_nc_u32_e32 v255, v39, v40
	ds_store_b128 v255, v[0:3]
	ds_store_b128 v255, v[4:7] offset:1040
	ds_store_b128 v255, v[8:11] offset:2080
	;; [unrolled: 1-line block ×12, first 2 shown]
	s_load_b128 s[4:7], s[6:7], 0x0
	s_waitcnt lgkmcnt(0)
	s_waitcnt_vscnt null, 0x0
	s_barrier
	buffer_gl0_inv
	ds_load_b128 v[52:55], v255
	ds_load_b128 v[56:59], v255 offset:1040
	ds_load_b128 v[60:63], v255 offset:2080
	;; [unrolled: 1-line block ×7, first 2 shown]
	s_waitcnt lgkmcnt(6)
	v_add_f64 v[0:1], v[52:53], v[56:57]
	v_add_f64 v[2:3], v[54:55], v[58:59]
	s_waitcnt lgkmcnt(5)
	s_delay_alu instid0(VALU_DEP_2) | instskip(NEXT) | instid1(VALU_DEP_2)
	v_add_f64 v[0:1], v[0:1], v[60:61]
	v_add_f64 v[2:3], v[2:3], v[62:63]
	s_waitcnt lgkmcnt(4)
	s_delay_alu instid0(VALU_DEP_2) | instskip(NEXT) | instid1(VALU_DEP_2)
	;; [unrolled: 4-line block ×5, first 2 shown]
	v_add_f64 v[12:13], v[0:1], v[4:5]
	v_add_f64 v[14:15], v[2:3], v[6:7]
	s_waitcnt lgkmcnt(0)
	v_add_f64 v[0:1], v[4:5], v[8:9]
	v_add_f64 v[2:3], v[6:7], v[10:11]
	v_add_f64 v[4:5], v[4:5], -v[8:9]
	v_add_f64 v[6:7], v[6:7], -v[10:11]
	v_add_f64 v[25:26], v[12:13], v[8:9]
	v_add_f64 v[27:28], v[14:15], v[10:11]
	ds_load_b128 v[12:15], v255 offset:8320
	ds_load_b128 v[21:24], v255 offset:9360
	v_mul_f64 v[154:155], v[4:5], s[20:21]
	v_mul_f64 v[152:153], v[6:7], s[20:21]
	;; [unrolled: 1-line block ×4, first 2 shown]
	s_waitcnt lgkmcnt(1)
	v_add_f64 v[8:9], v[72:73], v[12:13]
	v_add_f64 v[10:11], v[74:75], v[14:15]
	v_add_f64 v[16:17], v[72:73], -v[12:13]
	v_add_f64 v[18:19], v[74:75], -v[14:15]
	v_add_f64 v[25:26], v[25:26], v[12:13]
	v_add_f64 v[27:28], v[27:28], v[14:15]
	s_waitcnt lgkmcnt(0)
	v_add_f64 v[12:13], v[68:69], v[21:22]
	v_add_f64 v[14:15], v[70:71], v[23:24]
	v_add_f64 v[68:69], v[68:69], -v[21:22]
	v_add_f64 v[70:71], v[70:71], -v[23:24]
	v_mul_f64 v[130:131], v[16:17], s[34:35]
	v_mul_f64 v[128:129], v[18:19], s[34:35]
	;; [unrolled: 1-line block ×4, first 2 shown]
	v_add_f64 v[29:30], v[25:26], v[21:22]
	v_add_f64 v[31:32], v[27:28], v[23:24]
	ds_load_b128 v[21:24], v255 offset:10400
	ds_load_b128 v[25:28], v255 offset:11440
	scratch_store_b32 off, v40, off         ; 4-byte Folded Spill
	v_mul_f64 v[126:127], v[68:69], s[36:37]
	v_mul_f64 v[124:125], v[70:71], s[36:37]
	;; [unrolled: 1-line block ×4, first 2 shown]
	s_waitcnt lgkmcnt(1)
	v_add_f64 v[33:34], v[64:65], v[21:22]
	v_add_f64 v[35:36], v[66:67], v[23:24]
	v_add_f64 v[37:38], v[64:65], -v[21:22]
	v_add_f64 v[64:65], v[66:67], -v[23:24]
	s_waitcnt lgkmcnt(0)
	v_add_f64 v[66:67], v[62:63], -v[27:28]
	v_add_f64 v[88:89], v[60:61], -v[25:26]
	v_add_f64 v[90:91], v[60:61], v[25:26]
	v_add_f64 v[92:93], v[62:63], v[27:28]
	;; [unrolled: 1-line block ×4, first 2 shown]
	v_mul_f64 v[142:143], v[37:38], s[38:39]
	v_mul_f64 v[140:141], v[64:65], s[38:39]
	;; [unrolled: 1-line block ×6, first 2 shown]
	s_mov_b32 s37, 0x3fcea1e5
	s_mov_b32 s36, s14
	;; [unrolled: 1-line block ×3, first 2 shown]
	v_mul_f64 v[170:171], v[18:19], s[36:37]
	v_mul_f64 v[172:173], v[16:17], s[36:37]
	s_mov_b32 s38, s26
	v_mul_f64 v[178:179], v[66:67], s[34:35]
	v_mul_f64 v[174:175], v[6:7], s[38:39]
	;; [unrolled: 1-line block ×3, first 2 shown]
	v_add_f64 v[25:26], v[21:22], v[25:26]
	v_add_f64 v[27:28], v[23:24], v[27:28]
	ds_load_b128 v[21:24], v255 offset:12480
	v_mul_f64 v[180:181], v[37:38], s[26:27]
	v_mul_f64 v[182:183], v[70:71], s[36:37]
	;; [unrolled: 1-line block ×3, first 2 shown]
	s_waitcnt lgkmcnt(0)
	s_waitcnt_vscnt null, 0x0
	s_barrier
	buffer_gl0_inv
	v_add_f64 v[29:30], v[58:59], -v[23:24]
	v_add_f64 v[31:32], v[56:57], -v[21:22]
	v_add_f64 v[56:57], v[56:57], v[21:22]
	v_add_f64 v[58:59], v[58:59], v[23:24]
	;; [unrolled: 1-line block ×4, first 2 shown]
	v_mul_f64 v[25:26], v[29:30], s[30:31]
	v_mul_f64 v[94:95], v[31:32], s[24:25]
	;; [unrolled: 1-line block ×10, first 2 shown]
	v_fma_f64 v[74:75], v[56:57], s[28:29], -v[25:26]
	v_fma_f64 v[104:105], v[58:59], s[16:17], v[94:95]
	v_fma_f64 v[25:26], v[56:57], s[28:29], v[25:26]
	v_fma_f64 v[76:77], v[56:57], s[18:19], -v[27:28]
	v_fma_f64 v[27:28], v[56:57], s[18:19], v[27:28]
	v_fma_f64 v[78:79], v[56:57], s[16:17], -v[60:61]
	;; [unrolled: 2-line block ×5, first 2 shown]
	v_fma_f64 v[29:30], v[56:57], s[2:3], v[29:30]
	v_mul_f64 v[56:57], v[31:32], s[30:31]
	v_mul_f64 v[31:32], v[31:32], s[14:15]
	v_fma_f64 v[106:107], v[58:59], s[12:13], v[96:97]
	v_fma_f64 v[108:109], v[58:59], s[8:9], v[98:99]
	;; [unrolled: 1-line block ×3, first 2 shown]
	v_fma_f64 v[86:87], v[58:59], s[18:19], -v[86:87]
	v_fma_f64 v[94:95], v[58:59], s[16:17], -v[94:95]
	;; [unrolled: 1-line block ×4, first 2 shown]
	s_mov_b32 s31, 0x3fddbe06
	s_delay_alu instid0(SALU_CYCLE_1)
	v_mul_f64 v[132:133], v[6:7], s[30:31]
	v_mul_f64 v[134:135], v[4:5], s[30:31]
	;; [unrolled: 1-line block ×8, first 2 shown]
	v_add_f64 v[112:113], v[52:53], v[74:75]
	v_add_f64 v[74:75], v[54:55], v[104:105]
	v_mul_f64 v[104:105], v[66:67], s[22:23]
	v_add_f64 v[116:117], v[52:53], v[25:26]
	v_add_f64 v[25:26], v[52:53], v[76:77]
	;; [unrolled: 1-line block ×7, first 2 shown]
	v_fma_f64 v[100:101], v[58:59], s[28:29], v[56:57]
	v_fma_f64 v[56:57], v[58:59], s[28:29], -v[56:57]
	v_fma_f64 v[110:111], v[58:59], s[2:3], v[31:32]
	v_fma_f64 v[31:32], v[58:59], s[2:3], -v[31:32]
	v_add_f64 v[58:59], v[52:53], v[78:79]
	v_add_f64 v[78:79], v[54:55], v[106:107]
	;; [unrolled: 1-line block ×3, first 2 shown]
	v_mul_f64 v[106:107], v[88:89], s[22:23]
	v_mul_f64 v[108:109], v[64:65], s[14:15]
	v_add_f64 v[122:123], v[54:55], v[86:87]
	v_add_f64 v[86:87], v[54:55], v[96:97]
	;; [unrolled: 1-line block ×6, first 2 shown]
	v_fma_f64 v[27:28], v[90:91], s[12:13], -v[104:105]
	v_add_f64 v[114:115], v[54:55], v[100:101]
	v_add_f64 v[118:119], v[54:55], v[56:57]
	;; [unrolled: 1-line block ×5, first 2 shown]
	v_mul_f64 v[110:111], v[37:38], s[14:15]
	v_add_f64 v[102:103], v[54:55], v[31:32]
	v_fma_f64 v[31:32], v[92:93], s[2:3], v[138:139]
	v_fma_f64 v[29:30], v[33:34], s[2:3], -v[108:109]
	v_fma_f64 v[52:53], v[33:34], s[12:13], -v[140:141]
	v_fma_f64 v[54:55], v[92:93], s[8:9], v[158:159]
	v_add_f64 v[25:26], v[27:28], v[25:26]
	v_fma_f64 v[27:28], v[92:93], s[12:13], v[106:107]
	v_add_f64 v[31:32], v[31:32], v[74:75]
	s_delay_alu instid0(VALU_DEP_4)
	v_add_f64 v[54:55], v[54:55], v[78:79]
	v_mul_f64 v[78:79], v[88:89], s[30:31]
	v_add_f64 v[25:26], v[29:30], v[25:26]
	v_add_f64 v[27:28], v[27:28], v[56:57]
	v_fma_f64 v[29:30], v[35:36], s[2:3], v[110:111]
	v_fma_f64 v[56:57], v[33:34], s[28:29], -v[162:163]
	s_delay_alu instid0(VALU_DEP_2) | instskip(SKIP_1) | instid1(VALU_DEP_1)
	v_add_f64 v[27:28], v[29:30], v[27:28]
	v_fma_f64 v[29:30], v[12:13], s[8:9], -v[124:125]
	v_add_f64 v[25:26], v[29:30], v[25:26]
	v_fma_f64 v[29:30], v[14:15], s[8:9], v[126:127]
	s_delay_alu instid0(VALU_DEP_1) | instskip(SKIP_1) | instid1(VALU_DEP_1)
	v_add_f64 v[27:28], v[29:30], v[27:28]
	v_fma_f64 v[29:30], v[8:9], s[16:17], -v[128:129]
	v_add_f64 v[25:26], v[29:30], v[25:26]
	v_fma_f64 v[29:30], v[10:11], s[16:17], v[130:131]
	s_delay_alu instid0(VALU_DEP_1) | instskip(SKIP_1) | instid1(VALU_DEP_1)
	;; [unrolled: 5-line block ×3, first 2 shown]
	v_add_f64 v[27:28], v[29:30], v[27:28]
	v_fma_f64 v[29:30], v[90:91], s[2:3], -v[136:137]
	v_add_f64 v[29:30], v[29:30], v[58:59]
	s_delay_alu instid0(VALU_DEP_1) | instskip(SKIP_1) | instid1(VALU_DEP_1)
	v_add_f64 v[29:30], v[52:53], v[29:30]
	v_fma_f64 v[52:53], v[35:36], s[12:13], v[142:143]
	v_add_f64 v[31:32], v[52:53], v[31:32]
	v_fma_f64 v[52:53], v[12:13], s[28:29], -v[144:145]
	s_delay_alu instid0(VALU_DEP_1) | instskip(SKIP_1) | instid1(VALU_DEP_1)
	v_add_f64 v[29:30], v[52:53], v[29:30]
	v_fma_f64 v[52:53], v[14:15], s[28:29], v[146:147]
	v_add_f64 v[31:32], v[52:53], v[31:32]
	v_fma_f64 v[52:53], v[8:9], s[18:19], -v[148:149]
	;; [unrolled: 5-line block ×4, first 2 shown]
	s_delay_alu instid0(VALU_DEP_1) | instskip(SKIP_2) | instid1(VALU_DEP_3)
	v_add_f64 v[52:53], v[52:53], v[76:77]
	v_mul_f64 v[76:77], v[66:67], s[30:31]
	v_mul_f64 v[66:67], v[66:67], s[26:27]
	v_add_f64 v[52:53], v[56:57], v[52:53]
	v_fma_f64 v[56:57], v[35:36], s[28:29], v[164:165]
	s_delay_alu instid0(VALU_DEP_1) | instskip(SKIP_1) | instid1(VALU_DEP_1)
	v_add_f64 v[54:55], v[56:57], v[54:55]
	v_fma_f64 v[56:57], v[12:13], s[16:17], -v[166:167]
	v_add_f64 v[52:53], v[56:57], v[52:53]
	v_fma_f64 v[56:57], v[14:15], s[16:17], v[168:169]
	s_delay_alu instid0(VALU_DEP_1) | instskip(SKIP_1) | instid1(VALU_DEP_1)
	v_add_f64 v[54:55], v[56:57], v[54:55]
	v_fma_f64 v[56:57], v[8:9], s[2:3], -v[170:171]
	;; [unrolled: 5-line block ×4, first 2 shown]
	v_add_f64 v[56:57], v[56:57], v[80:81]
	v_mul_f64 v[80:81], v[88:89], s[34:35]
	v_mul_f64 v[88:89], v[88:89], s[26:27]
	s_delay_alu instid0(VALU_DEP_2) | instskip(SKIP_1) | instid1(VALU_DEP_2)
	v_fma_f64 v[58:59], v[92:93], s[16:17], v[80:81]
	v_fma_f64 v[80:81], v[92:93], s[16:17], -v[80:81]
	v_add_f64 v[58:59], v[58:59], v[82:83]
	v_mul_f64 v[82:83], v[64:65], s[26:27]
	s_delay_alu instid0(VALU_DEP_3) | instskip(NEXT) | instid1(VALU_DEP_2)
	v_add_f64 v[80:81], v[80:81], v[98:99]
	v_fma_f64 v[74:75], v[33:34], s[18:19], -v[82:83]
	v_fma_f64 v[82:83], v[33:34], s[18:19], v[82:83]
	s_delay_alu instid0(VALU_DEP_2) | instskip(SKIP_1) | instid1(VALU_DEP_1)
	v_add_f64 v[56:57], v[74:75], v[56:57]
	v_fma_f64 v[74:75], v[35:36], s[18:19], v[180:181]
	v_add_f64 v[58:59], v[74:75], v[58:59]
	v_fma_f64 v[74:75], v[12:13], s[2:3], -v[182:183]
	s_delay_alu instid0(VALU_DEP_1) | instskip(SKIP_1) | instid1(VALU_DEP_1)
	v_add_f64 v[56:57], v[74:75], v[56:57]
	v_fma_f64 v[74:75], v[14:15], s[2:3], v[184:185]
	v_add_f64 v[58:59], v[74:75], v[58:59]
	v_fma_f64 v[74:75], v[8:9], s[28:29], -v[186:187]
	s_delay_alu instid0(VALU_DEP_1) | instskip(SKIP_1) | instid1(VALU_DEP_1)
	;; [unrolled: 5-line block ×3, first 2 shown]
	v_add_f64 v[56:57], v[74:75], v[56:57]
	v_fma_f64 v[74:75], v[2:3], s[12:13], v[192:193]
	v_add_f64 v[58:59], v[74:75], v[58:59]
	v_fma_f64 v[74:75], v[90:91], s[28:29], -v[76:77]
	v_fma_f64 v[76:77], v[90:91], s[28:29], v[76:77]
	s_delay_alu instid0(VALU_DEP_2) | instskip(SKIP_1) | instid1(VALU_DEP_3)
	v_add_f64 v[72:73], v[74:75], v[72:73]
	v_fma_f64 v[74:75], v[92:93], s[28:29], v[78:79]
	v_add_f64 v[76:77], v[76:77], v[100:101]
	v_fma_f64 v[78:79], v[92:93], s[28:29], -v[78:79]
	s_delay_alu instid0(VALU_DEP_3) | instskip(SKIP_1) | instid1(VALU_DEP_3)
	v_add_f64 v[74:75], v[74:75], v[84:85]
	v_mul_f64 v[84:85], v[64:65], s[20:21]
	v_add_f64 v[78:79], v[78:79], v[102:103]
	v_mul_f64 v[64:65], v[64:65], s[24:25]
	s_delay_alu instid0(VALU_DEP_3) | instskip(SKIP_1) | instid1(VALU_DEP_3)
	v_fma_f64 v[194:195], v[33:34], s[8:9], -v[84:85]
	v_fma_f64 v[84:85], v[33:34], s[8:9], v[84:85]
	v_fma_f64 v[98:99], v[33:34], s[16:17], -v[64:65]
	s_delay_alu instid0(VALU_DEP_3) | instskip(SKIP_1) | instid1(VALU_DEP_4)
	v_add_f64 v[72:73], v[194:195], v[72:73]
	v_mul_f64 v[194:195], v[37:38], s[20:21]
	v_add_f64 v[76:77], v[84:85], v[76:77]
	v_mul_f64 v[37:38], v[37:38], s[24:25]
	s_delay_alu instid0(VALU_DEP_3) | instskip(SKIP_1) | instid1(VALU_DEP_2)
	v_fma_f64 v[196:197], v[35:36], s[8:9], v[194:195]
	v_fma_f64 v[84:85], v[35:36], s[8:9], -v[194:195]
	v_add_f64 v[74:75], v[196:197], v[74:75]
	v_mul_f64 v[196:197], v[70:71], s[38:39]
	s_delay_alu instid0(VALU_DEP_3) | instskip(SKIP_1) | instid1(VALU_DEP_3)
	v_add_f64 v[78:79], v[84:85], v[78:79]
	v_mul_f64 v[70:71], v[70:71], s[22:23]
	v_fma_f64 v[198:199], v[12:13], s[18:19], -v[196:197]
	v_fma_f64 v[84:85], v[12:13], s[18:19], v[196:197]
	s_delay_alu instid0(VALU_DEP_2) | instskip(SKIP_1) | instid1(VALU_DEP_3)
	v_add_f64 v[72:73], v[198:199], v[72:73]
	v_mul_f64 v[198:199], v[68:69], s[38:39]
	v_add_f64 v[76:77], v[84:85], v[76:77]
	v_mul_f64 v[68:69], v[68:69], s[22:23]
	s_delay_alu instid0(VALU_DEP_3) | instskip(SKIP_1) | instid1(VALU_DEP_2)
	v_fma_f64 v[200:201], v[14:15], s[18:19], v[198:199]
	v_fma_f64 v[84:85], v[14:15], s[18:19], -v[198:199]
	v_add_f64 v[74:75], v[200:201], v[74:75]
	v_mul_f64 v[200:201], v[18:19], s[22:23]
	s_delay_alu instid0(VALU_DEP_3) | instskip(SKIP_1) | instid1(VALU_DEP_3)
	v_add_f64 v[78:79], v[84:85], v[78:79]
	v_mul_f64 v[18:19], v[18:19], s[20:21]
	v_fma_f64 v[202:203], v[8:9], s[12:13], -v[200:201]
	v_fma_f64 v[84:85], v[8:9], s[12:13], v[200:201]
	s_delay_alu instid0(VALU_DEP_2) | instskip(SKIP_1) | instid1(VALU_DEP_3)
	v_add_f64 v[72:73], v[202:203], v[72:73]
	v_mul_f64 v[202:203], v[16:17], s[22:23]
	v_add_f64 v[76:77], v[84:85], v[76:77]
	v_mul_f64 v[16:17], v[16:17], s[20:21]
	s_delay_alu instid0(VALU_DEP_3) | instskip(SKIP_1) | instid1(VALU_DEP_2)
	v_fma_f64 v[204:205], v[10:11], s[12:13], v[202:203]
	v_fma_f64 v[84:85], v[10:11], s[12:13], -v[202:203]
	v_add_f64 v[74:75], v[204:205], v[74:75]
	v_mul_f64 v[204:205], v[6:7], s[34:35]
	s_delay_alu instid0(VALU_DEP_3) | instskip(NEXT) | instid1(VALU_DEP_2)
	v_add_f64 v[78:79], v[84:85], v[78:79]
	v_fma_f64 v[84:85], v[0:1], s[16:17], v[204:205]
	v_fma_f64 v[206:207], v[0:1], s[16:17], -v[204:205]
	s_delay_alu instid0(VALU_DEP_2) | instskip(SKIP_1) | instid1(VALU_DEP_3)
	v_add_f64 v[76:77], v[84:85], v[76:77]
	v_fma_f64 v[84:85], v[90:91], s[16:17], v[178:179]
	v_add_f64 v[72:73], v[206:207], v[72:73]
	v_mul_f64 v[206:207], v[4:5], s[34:35]
	s_delay_alu instid0(VALU_DEP_3) | instskip(SKIP_1) | instid1(VALU_DEP_3)
	v_add_f64 v[84:85], v[84:85], v[96:97]
	v_fma_f64 v[96:97], v[2:3], s[12:13], -v[192:193]
	v_fma_f64 v[100:101], v[2:3], s[16:17], -v[206:207]
	v_fma_f64 v[209:210], v[2:3], s[16:17], v[206:207]
	s_delay_alu instid0(VALU_DEP_4) | instskip(SKIP_1) | instid1(VALU_DEP_4)
	v_add_f64 v[82:83], v[82:83], v[84:85]
	v_fma_f64 v[84:85], v[35:36], s[18:19], -v[180:181]
	v_add_f64 v[78:79], v[100:101], v[78:79]
	s_delay_alu instid0(VALU_DEP_4) | instskip(NEXT) | instid1(VALU_DEP_3)
	v_add_f64 v[74:75], v[209:210], v[74:75]
	v_add_f64 v[80:81], v[84:85], v[80:81]
	v_fma_f64 v[84:85], v[12:13], s[2:3], v[182:183]
	s_delay_alu instid0(VALU_DEP_1) | instskip(SKIP_1) | instid1(VALU_DEP_1)
	v_add_f64 v[82:83], v[84:85], v[82:83]
	v_fma_f64 v[84:85], v[14:15], s[2:3], -v[184:185]
	v_add_f64 v[80:81], v[84:85], v[80:81]
	v_fma_f64 v[84:85], v[8:9], s[28:29], v[186:187]
	s_delay_alu instid0(VALU_DEP_1) | instskip(SKIP_1) | instid1(VALU_DEP_1)
	v_add_f64 v[82:83], v[84:85], v[82:83]
	v_fma_f64 v[84:85], v[10:11], s[28:29], -v[188:189]
	v_add_f64 v[84:85], v[84:85], v[80:81]
	v_fma_f64 v[80:81], v[0:1], s[12:13], v[190:191]
	s_delay_alu instid0(VALU_DEP_1) | instskip(NEXT) | instid1(VALU_DEP_3)
	v_add_f64 v[80:81], v[80:81], v[82:83]
	v_add_f64 v[82:83], v[96:97], v[84:85]
	v_fma_f64 v[84:85], v[90:91], s[8:9], v[156:157]
	v_fma_f64 v[96:97], v[2:3], s[18:19], -v[176:177]
	s_delay_alu instid0(VALU_DEP_2) | instskip(SKIP_1) | instid1(VALU_DEP_1)
	v_add_f64 v[62:63], v[84:85], v[62:63]
	v_fma_f64 v[84:85], v[92:93], s[8:9], -v[158:159]
	v_add_f64 v[84:85], v[84:85], v[86:87]
	v_fma_f64 v[86:87], v[33:34], s[28:29], v[162:163]
	s_delay_alu instid0(VALU_DEP_1) | instskip(SKIP_1) | instid1(VALU_DEP_1)
	v_add_f64 v[62:63], v[86:87], v[62:63]
	v_fma_f64 v[86:87], v[35:36], s[28:29], -v[164:165]
	v_add_f64 v[84:85], v[86:87], v[84:85]
	v_fma_f64 v[86:87], v[12:13], s[16:17], v[166:167]
	s_delay_alu instid0(VALU_DEP_1) | instskip(SKIP_1) | instid1(VALU_DEP_1)
	;; [unrolled: 5-line block ×3, first 2 shown]
	v_add_f64 v[62:63], v[86:87], v[62:63]
	v_fma_f64 v[86:87], v[10:11], s[2:3], -v[172:173]
	v_add_f64 v[86:87], v[86:87], v[84:85]
	v_fma_f64 v[84:85], v[0:1], s[18:19], v[174:175]
	s_delay_alu instid0(VALU_DEP_2) | instskip(NEXT) | instid1(VALU_DEP_2)
	v_add_f64 v[86:87], v[96:97], v[86:87]
	v_add_f64 v[84:85], v[84:85], v[62:63]
	v_fma_f64 v[62:63], v[90:91], s[2:3], v[136:137]
	v_fma_f64 v[96:97], v[2:3], s[8:9], -v[154:155]
	s_delay_alu instid0(VALU_DEP_2) | instskip(SKIP_1) | instid1(VALU_DEP_1)
	v_add_f64 v[60:61], v[62:63], v[60:61]
	v_fma_f64 v[62:63], v[92:93], s[2:3], -v[138:139]
	v_add_f64 v[62:63], v[62:63], v[94:95]
	v_fma_f64 v[94:95], v[33:34], s[12:13], v[140:141]
	s_delay_alu instid0(VALU_DEP_1) | instskip(SKIP_1) | instid1(VALU_DEP_1)
	v_add_f64 v[60:61], v[94:95], v[60:61]
	v_fma_f64 v[94:95], v[35:36], s[12:13], -v[142:143]
	v_add_f64 v[62:63], v[94:95], v[62:63]
	v_fma_f64 v[94:95], v[12:13], s[28:29], v[144:145]
	s_delay_alu instid0(VALU_DEP_1) | instskip(SKIP_1) | instid1(VALU_DEP_1)
	v_add_f64 v[60:61], v[94:95], v[60:61]
	v_fma_f64 v[94:95], v[14:15], s[28:29], -v[146:147]
	v_add_f64 v[62:63], v[94:95], v[62:63]
	v_fma_f64 v[94:95], v[8:9], s[18:19], v[148:149]
	s_delay_alu instid0(VALU_DEP_1) | instskip(SKIP_1) | instid1(VALU_DEP_1)
	v_add_f64 v[60:61], v[94:95], v[60:61]
	v_fma_f64 v[94:95], v[10:11], s[18:19], -v[150:151]
	v_add_f64 v[62:63], v[94:95], v[62:63]
	v_fma_f64 v[94:95], v[0:1], s[8:9], v[152:153]
	s_delay_alu instid0(VALU_DEP_2) | instskip(NEXT) | instid1(VALU_DEP_2)
	v_add_f64 v[102:103], v[96:97], v[62:63]
	v_add_f64 v[100:101], v[94:95], v[60:61]
	v_fma_f64 v[60:61], v[90:91], s[12:13], v[104:105]
	v_fma_f64 v[62:63], v[92:93], s[12:13], -v[106:107]
	v_fma_f64 v[94:95], v[33:34], s[2:3], v[108:109]
	v_fma_f64 v[96:97], v[2:3], s[28:29], -v[134:135]
	v_fma_f64 v[33:34], v[33:34], s[16:17], v[64:65]
	v_mul_f64 v[104:105], v[4:5], s[14:15]
	v_add_f64 v[60:61], v[60:61], v[120:121]
	v_add_f64 v[62:63], v[62:63], v[122:123]
	s_delay_alu instid0(VALU_DEP_2) | instskip(SKIP_1) | instid1(VALU_DEP_1)
	v_add_f64 v[60:61], v[94:95], v[60:61]
	v_fma_f64 v[94:95], v[35:36], s[2:3], -v[110:111]
	v_add_f64 v[62:63], v[94:95], v[62:63]
	v_fma_f64 v[94:95], v[12:13], s[8:9], v[124:125]
	s_delay_alu instid0(VALU_DEP_1) | instskip(SKIP_1) | instid1(VALU_DEP_1)
	v_add_f64 v[60:61], v[94:95], v[60:61]
	v_fma_f64 v[94:95], v[14:15], s[8:9], -v[126:127]
	v_add_f64 v[62:63], v[94:95], v[62:63]
	v_fma_f64 v[94:95], v[8:9], s[16:17], v[128:129]
	s_delay_alu instid0(VALU_DEP_1) | instskip(SKIP_1) | instid1(VALU_DEP_1)
	v_add_f64 v[60:61], v[94:95], v[60:61]
	v_fma_f64 v[94:95], v[10:11], s[16:17], -v[130:131]
	v_add_f64 v[62:63], v[94:95], v[62:63]
	v_fma_f64 v[94:95], v[0:1], s[28:29], v[132:133]
	s_delay_alu instid0(VALU_DEP_2) | instskip(NEXT) | instid1(VALU_DEP_2)
	v_add_f64 v[62:63], v[96:97], v[62:63]
	v_add_f64 v[60:61], v[94:95], v[60:61]
	v_fma_f64 v[94:95], v[90:91], s[18:19], -v[66:67]
	v_fma_f64 v[96:97], v[92:93], s[18:19], v[88:89]
	v_fma_f64 v[66:67], v[90:91], s[18:19], v[66:67]
	v_fma_f64 v[88:89], v[92:93], s[18:19], -v[88:89]
	s_delay_alu instid0(VALU_DEP_4) | instskip(NEXT) | instid1(VALU_DEP_4)
	v_add_f64 v[94:95], v[94:95], v[112:113]
	v_add_f64 v[96:97], v[96:97], v[114:115]
                                        ; implicit-def: $vgpr112_vgpr113
	s_delay_alu instid0(VALU_DEP_3) | instskip(NEXT) | instid1(VALU_DEP_3)
	v_add_f64 v[64:65], v[88:89], v[118:119]
	v_add_f64 v[94:95], v[98:99], v[94:95]
	v_fma_f64 v[98:99], v[35:36], s[16:17], v[37:38]
	v_fma_f64 v[35:36], v[35:36], s[16:17], -v[37:38]
	v_add_f64 v[37:38], v[66:67], v[116:117]
                                        ; implicit-def: $vgpr116_vgpr117
	s_delay_alu instid0(VALU_DEP_3) | instskip(SKIP_2) | instid1(VALU_DEP_4)
	v_add_f64 v[96:97], v[98:99], v[96:97]
	v_fma_f64 v[98:99], v[12:13], s[12:13], -v[70:71]
	v_fma_f64 v[12:13], v[12:13], s[12:13], v[70:71]
	v_add_f64 v[33:34], v[33:34], v[37:38]
	v_add_f64 v[35:36], v[35:36], v[64:65]
	s_delay_alu instid0(VALU_DEP_4) | instskip(SKIP_3) | instid1(VALU_DEP_3)
	v_add_f64 v[94:95], v[98:99], v[94:95]
	v_fma_f64 v[98:99], v[14:15], s[12:13], v[68:69]
	v_fma_f64 v[14:15], v[14:15], s[12:13], -v[68:69]
	v_add_f64 v[12:13], v[12:13], v[33:34]
	v_add_f64 v[96:97], v[98:99], v[96:97]
	v_fma_f64 v[98:99], v[8:9], s[8:9], -v[18:19]
	v_fma_f64 v[8:9], v[8:9], s[8:9], v[18:19]
	v_add_f64 v[14:15], v[14:15], v[35:36]
	s_delay_alu instid0(VALU_DEP_3) | instskip(SKIP_3) | instid1(VALU_DEP_3)
	v_add_f64 v[94:95], v[98:99], v[94:95]
	v_fma_f64 v[98:99], v[10:11], s[8:9], v[16:17]
	v_fma_f64 v[10:11], v[10:11], s[8:9], -v[16:17]
	v_add_f64 v[8:9], v[8:9], v[12:13]
	v_add_f64 v[96:97], v[98:99], v[96:97]
	v_mul_f64 v[98:99], v[6:7], s[14:15]
	v_fma_f64 v[6:7], v[2:3], s[2:3], v[104:105]
	v_fma_f64 v[2:3], v[2:3], s[2:3], -v[104:105]
	v_add_f64 v[10:11], v[10:11], v[14:15]
	s_delay_alu instid0(VALU_DEP_4) | instskip(SKIP_2) | instid1(VALU_DEP_4)
	v_fma_f64 v[4:5], v[0:1], s[2:3], -v[98:99]
	v_fma_f64 v[0:1], v[0:1], s[2:3], v[98:99]
	v_add_f64 v[6:7], v[6:7], v[96:97]
	v_add_f64 v[66:67], v[2:3], v[10:11]
	s_load_b64 s[2:3], s[0:1], 0x38
	s_delay_alu instid0(VALU_DEP_4) | instskip(NEXT) | instid1(VALU_DEP_4)
	v_add_f64 v[4:5], v[4:5], v[94:95]
	v_add_f64 v[64:65], v[0:1], v[8:9]
	v_mul_lo_u16 v0, v20, 13
	s_delay_alu instid0(VALU_DEP_1) | instskip(NEXT) | instid1(VALU_DEP_1)
	v_and_b32_e32 v0, 0xffff, v0
	v_lshl_add_u32 v221, v0, 4, v40
	ds_store_b128 v221, v[25:28] offset:32
	ds_store_b128 v221, v[29:32] offset:48
	;; [unrolled: 1-line block ×9, first 2 shown]
	ds_store_b128 v221, v[21:24]
	ds_store_b128 v221, v[100:103] offset:160
	ds_store_b128 v221, v[60:63] offset:176
	;; [unrolled: 1-line block ×3, first 2 shown]
	s_waitcnt lgkmcnt(0)
	s_barrier
	buffer_gl0_inv
	ds_load_b128 v[108:111], v255
	ds_load_b128 v[104:107], v255 offset:1040
	ds_load_b128 v[80:83], v255 offset:2704
	ds_load_b128 v[96:99], v255 offset:3744
	ds_load_b128 v[76:79], v255 offset:5408
	ds_load_b128 v[92:95], v255 offset:6448
	ds_load_b128 v[88:91], v255 offset:8112
	ds_load_b128 v[56:59], v255 offset:9152
	ds_load_b128 v[84:87], v255 offset:10816
	ds_load_b128 v[52:55], v255 offset:11856
	s_and_saveexec_b32 s0, vcc_lo
	s_cbranch_execz .LBB0_3
; %bb.2:
	ds_load_b128 v[100:103], v255 offset:2080
	ds_load_b128 v[60:63], v255 offset:4784
	ds_load_b128 v[64:67], v255 offset:7488
	ds_load_b128 v[112:115], v255 offset:10192
	ds_load_b128 v[116:119], v255 offset:12896
.LBB0_3:
	s_or_b32 exec_lo, exec_lo, s0
	v_and_b32_e32 v0, 0xff, v211
	s_mov_b32 s8, 0x134454ff
	s_mov_b32 s9, 0x3fee6f0e
	;; [unrolled: 1-line block ×4, first 2 shown]
	v_mul_lo_u16 v0, 0x4f, v0
	s_mov_b32 s0, 0x4755a5e
	s_mov_b32 s1, 0x3fe2cf23
	;; [unrolled: 1-line block ×4, first 2 shown]
	v_lshrrev_b16 v16, 10, v0
	s_mov_b32 s12, 0x372fe950
	s_mov_b32 s13, 0x3fd3c6ef
	s_delay_alu instid0(VALU_DEP_1) | instskip(SKIP_1) | instid1(VALU_DEP_2)
	v_mul_lo_u16 v0, v16, 13
	v_and_b32_e32 v16, 0xffff, v16
	v_sub_nc_u16 v0, v211, v0
	s_delay_alu instid0(VALU_DEP_2) | instskip(NEXT) | instid1(VALU_DEP_2)
	v_mul_u32_u24_e32 v16, 0x41, v16
	v_and_b32_e32 v17, 0xff, v0
	s_delay_alu instid0(VALU_DEP_1) | instskip(NEXT) | instid1(VALU_DEP_3)
	v_lshlrev_b32_e32 v2, 6, v17
	v_add_nc_u32_e32 v16, v16, v17
	s_clause 0x1
	global_load_b128 v[68:71], v2, s[10:11]
	global_load_b128 v[72:75], v2, s[10:11] offset:16
	s_waitcnt vmcnt(1) lgkmcnt(7)
	v_mul_f64 v[0:1], v[82:83], v[70:71]
	s_delay_alu instid0(VALU_DEP_1) | instskip(SKIP_1) | instid1(VALU_DEP_1)
	v_fma_f64 v[28:29], v[80:81], v[68:69], -v[0:1]
	v_mul_f64 v[0:1], v[80:81], v[70:71]
	v_fma_f64 v[30:31], v[82:83], v[68:69], v[0:1]
	s_waitcnt vmcnt(0) lgkmcnt(5)
	v_mul_f64 v[0:1], v[78:79], v[74:75]
	s_delay_alu instid0(VALU_DEP_1) | instskip(SKIP_1) | instid1(VALU_DEP_2)
	v_fma_f64 v[32:33], v[76:77], v[72:73], -v[0:1]
	v_mul_f64 v[0:1], v[76:77], v[74:75]
	v_add_f64 v[20:21], v[28:29], -v[32:33]
	s_delay_alu instid0(VALU_DEP_2)
	v_fma_f64 v[35:36], v[78:79], v[72:73], v[0:1]
	s_clause 0x1
	global_load_b128 v[76:79], v2, s[10:11] offset:32
	global_load_b128 v[80:83], v2, s[10:11] offset:48
	v_add_f64 v[146:147], v[32:33], -v[28:29]
	s_waitcnt vmcnt(1) lgkmcnt(3)
	v_mul_f64 v[0:1], v[90:91], v[78:79]
	s_delay_alu instid0(VALU_DEP_1) | instskip(SKIP_1) | instid1(VALU_DEP_2)
	v_fma_f64 v[37:38], v[88:89], v[76:77], -v[0:1]
	v_mul_f64 v[0:1], v[88:89], v[78:79]
	v_add_f64 v[144:145], v[32:33], -v[37:38]
	s_delay_alu instid0(VALU_DEP_2) | instskip(SKIP_2) | instid1(VALU_DEP_1)
	v_fma_f64 v[120:121], v[90:91], v[76:77], v[0:1]
	s_waitcnt vmcnt(0) lgkmcnt(1)
	v_mul_f64 v[0:1], v[86:87], v[82:83]
	v_fma_f64 v[122:123], v[84:85], v[80:81], -v[0:1]
	v_mul_f64 v[0:1], v[84:85], v[82:83]
	s_delay_alu instid0(VALU_DEP_2) | instskip(NEXT) | instid1(VALU_DEP_2)
	v_add_f64 v[22:23], v[122:123], -v[37:38]
	v_fma_f64 v[124:125], v[86:87], v[80:81], v[0:1]
	v_add_nc_u16 v0, v211, 0x41
	v_add_f64 v[142:143], v[28:29], -v[122:123]
	s_delay_alu instid0(VALU_DEP_2) | instskip(NEXT) | instid1(VALU_DEP_1)
	v_and_b32_e32 v1, 0xff, v0
	v_mul_lo_u16 v1, 0x4f, v1
	s_delay_alu instid0(VALU_DEP_1) | instskip(NEXT) | instid1(VALU_DEP_1)
	v_lshrrev_b16 v18, 10, v1
	v_mul_lo_u16 v1, v18, 13
	s_delay_alu instid0(VALU_DEP_1) | instskip(NEXT) | instid1(VALU_DEP_1)
	v_sub_nc_u16 v0, v0, v1
	v_and_b32_e32 v19, 0xff, v0
	s_delay_alu instid0(VALU_DEP_1)
	v_lshlrev_b32_e32 v2, 6, v19
	s_clause 0x1
	global_load_b128 v[84:87], v2, s[10:11]
	global_load_b128 v[88:91], v2, s[10:11] offset:16
	v_add_f64 v[24:25], v[20:21], v[22:23]
	v_add_f64 v[20:21], v[30:31], -v[35:36]
	v_add_f64 v[22:23], v[124:125], -v[120:121]
	s_delay_alu instid0(VALU_DEP_1) | instskip(SKIP_3) | instid1(VALU_DEP_1)
	v_add_f64 v[26:27], v[20:21], v[22:23]
	v_add_f64 v[20:21], v[32:33], v[37:38]
	s_waitcnt vmcnt(1)
	v_mul_f64 v[0:1], v[98:99], v[86:87]
	v_fma_f64 v[126:127], v[96:97], v[84:85], -v[0:1]
	v_mul_f64 v[0:1], v[96:97], v[86:87]
	s_delay_alu instid0(VALU_DEP_1) | instskip(SKIP_2) | instid1(VALU_DEP_1)
	v_fma_f64 v[128:129], v[98:99], v[84:85], v[0:1]
	s_waitcnt vmcnt(0)
	v_mul_f64 v[0:1], v[94:95], v[90:91]
	v_fma_f64 v[130:131], v[92:93], v[88:89], -v[0:1]
	v_mul_f64 v[0:1], v[92:93], v[90:91]
	s_delay_alu instid0(VALU_DEP_1)
	v_fma_f64 v[132:133], v[94:95], v[88:89], v[0:1]
	s_clause 0x1
	global_load_b128 v[92:95], v2, s[10:11] offset:32
	global_load_b128 v[96:99], v2, s[10:11] offset:48
	s_waitcnt vmcnt(1)
	v_mul_f64 v[0:1], v[58:59], v[94:95]
	s_delay_alu instid0(VALU_DEP_1) | instskip(SKIP_1) | instid1(VALU_DEP_1)
	v_fma_f64 v[134:135], v[56:57], v[92:93], -v[0:1]
	v_mul_f64 v[0:1], v[56:57], v[94:95]
	v_fma_f64 v[136:137], v[58:59], v[92:93], v[0:1]
	s_waitcnt vmcnt(0) lgkmcnt(0)
	v_mul_f64 v[0:1], v[54:55], v[98:99]
	s_delay_alu instid0(VALU_DEP_1) | instskip(SKIP_1) | instid1(VALU_DEP_1)
	v_fma_f64 v[138:139], v[52:53], v[96:97], -v[0:1]
	v_mul_f64 v[0:1], v[52:53], v[98:99]
	v_fma_f64 v[140:141], v[54:55], v[96:97], v[0:1]
	v_add_nc_u16 v0, v211, 0x82
	s_delay_alu instid0(VALU_DEP_1) | instskip(NEXT) | instid1(VALU_DEP_1)
	v_and_b32_e32 v1, 0xff, v0
	v_mul_lo_u16 v1, 0x4f, v1
	s_delay_alu instid0(VALU_DEP_1) | instskip(NEXT) | instid1(VALU_DEP_1)
	v_lshrrev_b16 v34, 10, v1
	v_mul_lo_u16 v1, v34, 13
	v_and_b32_e32 v34, 0xffff, v34
	s_delay_alu instid0(VALU_DEP_2) | instskip(NEXT) | instid1(VALU_DEP_1)
	v_sub_nc_u16 v0, v0, v1
	v_and_b32_e32 v0, 0xff, v0
	s_delay_alu instid0(VALU_DEP_1)
	v_lshlrev_b32_e32 v4, 6, v0
	scratch_store_b32 off, v0, off offset:216 ; 4-byte Folded Spill
	s_clause 0x1
	global_load_b128 v[52:55], v4, s[10:11]
	global_load_b128 v[56:59], v4, s[10:11] offset:16
	s_waitcnt vmcnt(1)
	v_mul_f64 v[0:1], v[62:63], v[54:55]
	s_delay_alu instid0(VALU_DEP_1) | instskip(SKIP_1) | instid1(VALU_DEP_1)
	v_fma_f64 v[12:13], v[60:61], v[52:53], -v[0:1]
	v_mul_f64 v[0:1], v[60:61], v[54:55]
	v_fma_f64 v[14:15], v[62:63], v[52:53], v[0:1]
	s_waitcnt vmcnt(0)
	v_mul_f64 v[0:1], v[66:67], v[58:59]
	s_delay_alu instid0(VALU_DEP_1) | instskip(SKIP_1) | instid1(VALU_DEP_1)
	v_fma_f64 v[2:3], v[64:65], v[56:57], -v[0:1]
	v_mul_f64 v[0:1], v[64:65], v[58:59]
	v_fma_f64 v[8:9], v[66:67], v[56:57], v[0:1]
	s_clause 0x1
	global_load_b128 v[60:63], v4, s[10:11] offset:32
	global_load_b128 v[64:67], v4, s[10:11] offset:48
	scratch_load_b32 v17, off, off          ; 4-byte Folded Reload
	s_waitcnt vmcnt(0)
	s_waitcnt_vscnt null, 0x0
	s_barrier
	buffer_gl0_inv
	v_mul_f64 v[0:1], v[114:115], v[62:63]
	v_mul_f64 v[6:7], v[116:117], v[66:67]
	s_delay_alu instid0(VALU_DEP_2) | instskip(SKIP_4) | instid1(VALU_DEP_4)
	v_fma_f64 v[4:5], v[112:113], v[60:61], -v[0:1]
	v_mul_f64 v[0:1], v[112:113], v[62:63]
	v_fma_f64 v[112:113], v[20:21], -0.5, v[108:109]
	v_add_f64 v[20:21], v[35:36], v[120:121]
	v_fma_f64 v[6:7], v[118:119], v[64:65], v[6:7]
	v_fma_f64 v[10:11], v[114:115], v[60:61], v[0:1]
	v_mul_f64 v[0:1], v[118:119], v[66:67]
	s_delay_alu instid0(VALU_DEP_4) | instskip(SKIP_1) | instid1(VALU_DEP_3)
	v_fma_f64 v[114:115], v[20:21], -0.5, v[110:111]
	v_add_f64 v[118:119], v[35:36], -v[120:121]
	v_fma_f64 v[0:1], v[116:117], v[64:65], -v[0:1]
	v_add_f64 v[116:117], v[30:31], -v[124:125]
	s_delay_alu instid0(VALU_DEP_4) | instskip(SKIP_1) | instid1(VALU_DEP_3)
	v_fma_f64 v[22:23], v[142:143], s[14:15], v[114:115]
	v_fma_f64 v[114:115], v[142:143], s[8:9], v[114:115]
	;; [unrolled: 1-line block ×4, first 2 shown]
	s_delay_alu instid0(VALU_DEP_4) | instskip(NEXT) | instid1(VALU_DEP_4)
	v_fma_f64 v[22:23], v[144:145], s[16:17], v[22:23]
	v_fma_f64 v[114:115], v[144:145], s[0:1], v[114:115]
	s_delay_alu instid0(VALU_DEP_4) | instskip(NEXT) | instid1(VALU_DEP_4)
	v_fma_f64 v[20:21], v[118:119], s[0:1], v[20:21]
	v_fma_f64 v[112:113], v[118:119], s[16:17], v[112:113]
	s_delay_alu instid0(VALU_DEP_4) | instskip(NEXT) | instid1(VALU_DEP_4)
	v_fma_f64 v[22:23], v[26:27], s[12:13], v[22:23]
	v_fma_f64 v[26:27], v[26:27], s[12:13], v[114:115]
	v_add_f64 v[114:115], v[30:31], v[124:125]
	v_fma_f64 v[20:21], v[24:25], s[12:13], v[20:21]
	v_fma_f64 v[24:25], v[24:25], s[12:13], v[112:113]
	v_add_f64 v[112:113], v[28:29], v[122:123]
	s_delay_alu instid0(VALU_DEP_4) | instskip(SKIP_1) | instid1(VALU_DEP_3)
	v_fma_f64 v[114:115], v[114:115], -0.5, v[110:111]
	v_add_f64 v[110:111], v[110:111], v[30:31]
	v_fma_f64 v[112:113], v[112:113], -0.5, v[108:109]
	v_add_f64 v[108:109], v[108:109], v[28:29]
	s_delay_alu instid0(VALU_DEP_1) | instskip(NEXT) | instid1(VALU_DEP_4)
	v_add_f64 v[28:29], v[108:109], v[32:33]
	v_add_f64 v[32:33], v[110:111], v[35:36]
	v_add_f64 v[35:36], v[35:36], -v[30:31]
	v_fma_f64 v[108:109], v[118:119], s[14:15], v[112:113]
	v_fma_f64 v[110:111], v[118:119], s[8:9], v[112:113]
	;; [unrolled: 1-line block ×4, first 2 shown]
	v_add_f64 v[144:145], v[126:127], -v[138:139]
	v_add_f64 v[28:29], v[28:29], v[37:38]
	v_add_f64 v[30:31], v[32:33], v[120:121]
	v_add_f64 v[32:33], v[37:38], -v[122:123]
	v_add_f64 v[37:38], v[120:121], -v[124:125]
	v_fma_f64 v[114:115], v[142:143], s[0:1], v[114:115]
	v_add_f64 v[28:29], v[28:29], v[122:123]
	v_add_f64 v[30:31], v[30:31], v[124:125]
	;; [unrolled: 1-line block ×4, first 2 shown]
	v_fma_f64 v[37:38], v[116:117], s[0:1], v[108:109]
	v_fma_f64 v[116:117], v[116:117], s[16:17], v[110:111]
	;; [unrolled: 1-line block ×3, first 2 shown]
	v_add_f64 v[124:125], v[128:129], -v[140:141]
	v_add_f64 v[142:143], v[132:133], -v[136:137]
	;; [unrolled: 1-line block ×3, first 2 shown]
	v_fma_f64 v[114:115], v[35:36], s[12:13], v[114:115]
	v_fma_f64 v[108:109], v[32:33], s[12:13], v[37:38]
	;; [unrolled: 1-line block ×4, first 2 shown]
	v_add_f64 v[32:33], v[126:127], -v[130:131]
	v_add_f64 v[35:36], v[138:139], -v[134:135]
	;; [unrolled: 1-line block ×3, first 2 shown]
	v_add_f64 v[116:117], v[132:133], v[136:137]
	s_delay_alu instid0(VALU_DEP_3) | instskip(SKIP_1) | instid1(VALU_DEP_3)
	v_add_f64 v[32:33], v[32:33], v[35:36]
	v_add_f64 v[35:36], v[128:129], -v[132:133]
	v_fma_f64 v[120:121], v[116:117], -0.5, v[106:107]
	s_delay_alu instid0(VALU_DEP_2) | instskip(SKIP_1) | instid1(VALU_DEP_3)
	v_add_f64 v[35:36], v[35:36], v[37:38]
	v_add_f64 v[37:38], v[130:131], v[134:135]
	v_fma_f64 v[118:119], v[144:145], s[14:15], v[120:121]
	v_fma_f64 v[120:121], v[144:145], s[8:9], v[120:121]
	s_delay_alu instid0(VALU_DEP_3) | instskip(NEXT) | instid1(VALU_DEP_3)
	v_fma_f64 v[37:38], v[37:38], -0.5, v[104:105]
	v_fma_f64 v[118:119], v[146:147], s[16:17], v[118:119]
	s_delay_alu instid0(VALU_DEP_3) | instskip(NEXT) | instid1(VALU_DEP_3)
	v_fma_f64 v[122:123], v[146:147], s[0:1], v[120:121]
	v_fma_f64 v[116:117], v[124:125], s[8:9], v[37:38]
	;; [unrolled: 1-line block ×3, first 2 shown]
	s_delay_alu instid0(VALU_DEP_4) | instskip(NEXT) | instid1(VALU_DEP_4)
	v_fma_f64 v[118:119], v[35:36], s[12:13], v[118:119]
	v_fma_f64 v[122:123], v[35:36], s[12:13], v[122:123]
	v_add_f64 v[35:36], v[128:129], v[140:141]
	v_fma_f64 v[116:117], v[142:143], s[0:1], v[116:117]
	v_fma_f64 v[37:38], v[142:143], s[16:17], v[37:38]
	s_delay_alu instid0(VALU_DEP_3) | instskip(NEXT) | instid1(VALU_DEP_3)
	v_fma_f64 v[35:36], v[35:36], -0.5, v[106:107]
	v_fma_f64 v[116:117], v[32:33], s[12:13], v[116:117]
	s_delay_alu instid0(VALU_DEP_3) | instskip(SKIP_3) | instid1(VALU_DEP_3)
	v_fma_f64 v[120:121], v[32:33], s[12:13], v[37:38]
	v_add_f64 v[32:33], v[126:127], v[138:139]
	v_add_f64 v[37:38], v[104:105], v[126:127]
	v_add_f64 v[126:127], v[130:131], -v[126:127]
	v_fma_f64 v[32:33], v[32:33], -0.5, v[104:105]
	v_add_f64 v[104:105], v[106:107], v[128:129]
	s_delay_alu instid0(VALU_DEP_4) | instskip(SKIP_2) | instid1(VALU_DEP_4)
	v_add_f64 v[37:38], v[37:38], v[130:131]
	v_add_f64 v[128:129], v[132:133], -v[128:129]
	v_add_f64 v[130:131], v[134:135], -v[138:139]
	v_add_f64 v[104:105], v[104:105], v[132:133]
	s_delay_alu instid0(VALU_DEP_4)
	v_add_f64 v[37:38], v[37:38], v[134:135]
	v_fma_f64 v[132:133], v[142:143], s[14:15], v[32:33]
	v_fma_f64 v[32:33], v[142:143], s[8:9], v[32:33]
	;; [unrolled: 1-line block ×3, first 2 shown]
	v_add_f64 v[130:131], v[126:127], v[130:131]
	v_fma_f64 v[35:36], v[146:147], s[14:15], v[35:36]
	v_add_f64 v[106:107], v[104:105], v[136:137]
	v_add_f64 v[104:105], v[37:38], v[138:139]
	v_add_f64 v[37:38], v[136:137], -v[140:141]
	v_fma_f64 v[126:127], v[124:125], s[0:1], v[132:133]
	v_fma_f64 v[32:33], v[124:125], s[16:17], v[32:33]
	;; [unrolled: 1-line block ×3, first 2 shown]
	v_add_f64 v[106:107], v[106:107], v[140:141]
	v_add_f64 v[37:38], v[128:129], v[37:38]
	v_fma_f64 v[128:129], v[144:145], s[16:17], v[134:135]
	v_fma_f64 v[124:125], v[130:131], s[12:13], v[126:127]
	s_delay_alu instid0(VALU_DEP_2)
	v_fma_f64 v[126:127], v[37:38], s[12:13], v[128:129]
	v_fma_f64 v[128:129], v[130:131], s[12:13], v[32:33]
	v_lshl_add_u32 v33, v16, 4, v17
	v_and_b32_e32 v16, 0xffff, v18
	ds_store_b128 v33, v[28:31]
	ds_store_b128 v33, v[20:23] offset:208
	ds_store_b128 v33, v[108:111] offset:416
	;; [unrolled: 1-line block ×4, first 2 shown]
	v_mul_u32_u24_e32 v16, 0x41, v16
	v_add_f64 v[20:21], v[4:5], -v[0:1]
	v_add_f64 v[22:23], v[6:7], -v[10:11]
	;; [unrolled: 1-line block ×4, first 2 shown]
	v_add_nc_u32_e32 v16, v16, v19
	v_add_f64 v[18:19], v[0:1], -v[4:5]
	v_fma_f64 v[130:131], v[37:38], s[12:13], v[35:36]
	v_add_f64 v[30:31], v[8:9], -v[10:11]
	v_add_f64 v[26:27], v[8:9], v[10:11]
	v_lshl_add_u32 v32, v16, 4, v17
	v_add_f64 v[16:17], v[12:13], -v[2:3]
	ds_store_b128 v32, v[104:107]
	ds_store_b128 v32, v[116:119] offset:208
	ds_store_b128 v32, v[124:127] offset:416
	;; [unrolled: 1-line block ×4, first 2 shown]
	v_add_f64 v[104:105], v[12:13], -v[0:1]
	v_add_f64 v[108:109], v[2:3], -v[4:5]
	scratch_store_b32 off, v34, off offset:220 ; 4-byte Folded Spill
	v_fma_f64 v[26:27], v[26:27], -0.5, v[102:103]
	v_add_f64 v[16:17], v[16:17], v[18:19]
	v_add_f64 v[18:19], v[2:3], -v[12:13]
	s_delay_alu instid0(VALU_DEP_3) | instskip(NEXT) | instid1(VALU_DEP_2)
	v_fma_f64 v[37:38], v[104:105], s[8:9], v[26:27]
	v_add_f64 v[18:19], v[18:19], v[20:21]
	v_add_f64 v[20:21], v[14:15], -v[8:9]
	s_delay_alu instid0(VALU_DEP_3) | instskip(NEXT) | instid1(VALU_DEP_2)
	v_fma_f64 v[37:38], v[108:109], s[0:1], v[37:38]
	v_add_f64 v[20:21], v[20:21], v[22:23]
	v_add_f64 v[22:23], v[8:9], -v[14:15]
	s_delay_alu instid0(VALU_DEP_2) | instskip(NEXT) | instid1(VALU_DEP_2)
	v_fma_f64 v[114:115], v[20:21], s[12:13], v[37:38]
	v_add_f64 v[22:23], v[22:23], v[24:25]
	v_add_f64 v[24:25], v[2:3], v[4:5]
	s_delay_alu instid0(VALU_DEP_1) | instskip(NEXT) | instid1(VALU_DEP_1)
	v_fma_f64 v[24:25], v[24:25], -0.5, v[100:101]
	v_fma_f64 v[35:36], v[28:29], s[14:15], v[24:25]
	s_delay_alu instid0(VALU_DEP_1) | instskip(NEXT) | instid1(VALU_DEP_1)
	v_fma_f64 v[35:36], v[30:31], s[16:17], v[35:36]
	v_fma_f64 v[112:113], v[16:17], s[12:13], v[35:36]
	v_add_f64 v[35:36], v[12:13], v[0:1]
	s_delay_alu instid0(VALU_DEP_1) | instskip(SKIP_1) | instid1(VALU_DEP_1)
	v_fma_f64 v[106:107], v[35:36], -0.5, v[100:101]
	v_add_f64 v[35:36], v[14:15], v[6:7]
	v_fma_f64 v[110:111], v[35:36], -0.5, v[102:103]
	s_delay_alu instid0(VALU_DEP_3) | instskip(NEXT) | instid1(VALU_DEP_2)
	v_fma_f64 v[35:36], v[30:31], s[8:9], v[106:107]
	v_fma_f64 v[37:38], v[108:109], s[14:15], v[110:111]
	s_delay_alu instid0(VALU_DEP_2) | instskip(NEXT) | instid1(VALU_DEP_2)
	v_fma_f64 v[35:36], v[28:29], s[16:17], v[35:36]
	v_fma_f64 v[37:38], v[104:105], s[0:1], v[37:38]
	s_delay_alu instid0(VALU_DEP_2) | instskip(NEXT) | instid1(VALU_DEP_2)
	v_fma_f64 v[116:117], v[18:19], s[12:13], v[35:36]
	v_fma_f64 v[118:119], v[22:23], s[12:13], v[37:38]
	s_and_saveexec_b32 s14, vcc_lo
	s_cbranch_execz .LBB0_5
; %bb.4:
	v_add_f64 v[14:15], v[102:103], v[14:15]
	v_add_f64 v[12:13], v[100:101], v[12:13]
	v_mul_f64 v[38:39], v[28:29], s[8:9]
	v_mul_f64 v[100:101], v[30:31], s[8:9]
	v_mul_f64 v[30:31], v[30:31], s[0:1]
	v_mul_f64 v[36:37], v[104:105], s[8:9]
	v_mul_f64 v[34:35], v[108:109], s[8:9]
	v_mul_f64 v[102:103], v[108:109], s[0:1]
	v_mul_f64 v[28:29], v[28:29], s[0:1]
	v_mul_f64 v[104:105], v[104:105], s[0:1]
	v_mul_f64 v[16:17], v[16:17], s[12:13]
	v_mul_f64 v[20:21], v[20:21], s[12:13]
	v_mul_f64 v[18:19], v[18:19], s[12:13]
	v_mul_f64 v[22:23], v[22:23], s[12:13]
	v_add_f64 v[8:9], v[14:15], v[8:9]
	v_add_f64 v[2:3], v[12:13], v[2:3]
	;; [unrolled: 1-line block ×3, first 2 shown]
	v_add_f64 v[14:15], v[106:107], -v[100:101]
	v_add_f64 v[26:27], v[26:27], -v[36:37]
	v_add_f64 v[34:35], v[34:35], v[110:111]
	v_add_f64 v[10:11], v[8:9], v[10:11]
	;; [unrolled: 1-line block ×5, first 2 shown]
	v_add_f64 v[26:27], v[26:27], -v[102:103]
	v_add_f64 v[24:25], v[34:35], -v[104:105]
	v_add_f64 v[12:13], v[10:11], v[6:7]
	v_add_f64 v[10:11], v[4:5], v[0:1]
	s_clause 0x1
	scratch_load_b32 v4, off, off offset:220
	scratch_load_b32 v5, off, off offset:216
	v_add_f64 v[6:7], v[16:17], v[30:31]
	v_add_f64 v[8:9], v[20:21], v[26:27]
	;; [unrolled: 1-line block ×4, first 2 shown]
	s_waitcnt vmcnt(1)
	v_mul_u32_u24_e32 v4, 0x41, v4
	s_waitcnt vmcnt(0)
	s_delay_alu instid0(VALU_DEP_1)
	v_add_nc_u32_e32 v4, v4, v5
	scratch_load_b32 v5, off, off           ; 4-byte Folded Reload
	s_waitcnt vmcnt(0)
	v_lshl_add_u32 v4, v4, 4, v5
	ds_store_b128 v4, v[10:13]
	ds_store_b128 v4, v[6:9] offset:208
	ds_store_b128 v4, v[0:3] offset:416
	;; [unrolled: 1-line block ×4, first 2 shown]
.LBB0_5:
	s_or_b32 exec_lo, exec_lo, s14
	v_mad_u64_u32 v[0:1], null, 0xc0, v211, s[10:11]
	scratch_store_b32 off, v211, off offset:212 ; 4-byte Folded Spill
	s_waitcnt lgkmcnt(0)
	s_waitcnt_vscnt null, 0x0
	s_barrier
	buffer_gl0_inv
	s_mov_b32 s20, 0x66966769
	s_mov_b32 s21, 0xbfefc445
	s_clause 0x2
	global_load_b128 v[108:111], v[0:1], off offset:832
	global_load_b128 v[100:103], v[0:1], off offset:848
	;; [unrolled: 1-line block ×3, first 2 shown]
	ds_load_b128 v[120:123], v255 offset:1040
	ds_load_b128 v[14:17], v255
	ds_load_b128 v[2:5], v255 offset:2080
	ds_load_b128 v[6:9], v255 offset:3120
	global_load_b128 v[136:139], v[0:1], off offset:880
	s_mov_b32 s18, 0x42a4c3d2
	s_mov_b32 s26, 0xebaa3ed8
	;; [unrolled: 1-line block ×31, first 2 shown]
	s_waitcnt vmcnt(3) lgkmcnt(3)
	v_mul_f64 v[10:11], v[122:123], v[110:111]
	s_waitcnt vmcnt(2) lgkmcnt(1)
	v_mul_f64 v[18:19], v[4:5], v[102:103]
	v_mul_f64 v[20:21], v[2:3], v[102:103]
	;; [unrolled: 1-line block ×3, first 2 shown]
	s_delay_alu instid0(VALU_DEP_4) | instskip(NEXT) | instid1(VALU_DEP_4)
	v_fma_f64 v[10:11], v[120:121], v[108:109], -v[10:11]
	v_fma_f64 v[162:163], v[2:3], v[100:101], -v[18:19]
	s_waitcnt vmcnt(1) lgkmcnt(0)
	v_mul_f64 v[2:3], v[8:9], v[106:107]
	s_delay_alu instid0(VALU_DEP_4) | instskip(SKIP_1) | instid1(VALU_DEP_3)
	v_fma_f64 v[12:13], v[122:123], v[108:109], v[12:13]
	v_fma_f64 v[164:165], v[4:5], v[100:101], v[20:21]
	v_fma_f64 v[166:167], v[6:7], v[104:105], -v[2:3]
	v_mul_f64 v[2:3], v[6:7], v[106:107]
	s_delay_alu instid0(VALU_DEP_1)
	v_fma_f64 v[168:169], v[8:9], v[104:105], v[2:3]
	ds_load_b128 v[2:5], v255 offset:4160
	ds_load_b128 v[6:9], v255 offset:5200
	s_clause 0x1
	global_load_b128 v[124:127], v[0:1], off offset:896
	global_load_b128 v[120:123], v[0:1], off offset:912
	s_waitcnt vmcnt(2) lgkmcnt(1)
	v_mul_f64 v[18:19], v[4:5], v[138:139]
	s_delay_alu instid0(VALU_DEP_1) | instskip(SKIP_1) | instid1(VALU_DEP_1)
	v_fma_f64 v[170:171], v[2:3], v[136:137], -v[18:19]
	v_mul_f64 v[2:3], v[2:3], v[138:139]
	v_fma_f64 v[172:173], v[4:5], v[136:137], v[2:3]
	s_waitcnt vmcnt(1) lgkmcnt(0)
	v_mul_f64 v[2:3], v[8:9], v[126:127]
	s_delay_alu instid0(VALU_DEP_1) | instskip(SKIP_1) | instid1(VALU_DEP_1)
	v_fma_f64 v[174:175], v[6:7], v[124:125], -v[2:3]
	v_mul_f64 v[2:3], v[6:7], v[126:127]
	v_fma_f64 v[176:177], v[8:9], v[124:125], v[2:3]
	ds_load_b128 v[2:5], v255 offset:6240
	ds_load_b128 v[6:9], v255 offset:7280
	s_clause 0x1
	global_load_b128 v[132:135], v[0:1], off offset:928
	global_load_b128 v[128:131], v[0:1], off offset:944
	s_waitcnt vmcnt(2) lgkmcnt(1)
	v_mul_f64 v[18:19], v[4:5], v[122:123]
	s_delay_alu instid0(VALU_DEP_1) | instskip(SKIP_1) | instid1(VALU_DEP_1)
	v_fma_f64 v[178:179], v[2:3], v[120:121], -v[18:19]
	v_mul_f64 v[2:3], v[2:3], v[122:123]
	v_fma_f64 v[180:181], v[4:5], v[120:121], v[2:3]
	s_waitcnt vmcnt(1) lgkmcnt(0)
	v_mul_f64 v[2:3], v[8:9], v[134:135]
	s_delay_alu instid0(VALU_DEP_1) | instskip(SKIP_1) | instid1(VALU_DEP_2)
	v_fma_f64 v[182:183], v[6:7], v[132:133], -v[2:3]
	v_mul_f64 v[2:3], v[6:7], v[134:135]
	v_add_f64 v[44:45], v[178:179], v[182:183]
	s_delay_alu instid0(VALU_DEP_2)
	v_fma_f64 v[184:185], v[8:9], v[132:133], v[2:3]
	ds_load_b128 v[2:5], v255 offset:8320
	ds_load_b128 v[6:9], v255 offset:9360
	s_clause 0x1
	global_load_b128 v[140:143], v[0:1], off offset:960
	global_load_b128 v[144:147], v[0:1], off offset:976
	s_waitcnt vmcnt(2) lgkmcnt(1)
	v_mul_f64 v[18:19], v[4:5], v[130:131]
	v_add_f64 v[48:49], v[180:181], v[184:185]
	s_delay_alu instid0(VALU_DEP_2) | instskip(SKIP_1) | instid1(VALU_DEP_1)
	v_fma_f64 v[186:187], v[2:3], v[128:129], -v[18:19]
	v_mul_f64 v[2:3], v[2:3], v[130:131]
	v_fma_f64 v[188:189], v[4:5], v[128:129], v[2:3]
	s_delay_alu instid0(VALU_DEP_1) | instskip(SKIP_2) | instid1(VALU_DEP_1)
	v_add_f64 v[237:238], v[176:177], v[188:189]
	s_waitcnt vmcnt(1) lgkmcnt(0)
	v_mul_f64 v[2:3], v[8:9], v[142:143]
	v_fma_f64 v[190:191], v[6:7], v[140:141], -v[2:3]
	v_mul_f64 v[2:3], v[6:7], v[142:143]
	s_delay_alu instid0(VALU_DEP_1)
	v_fma_f64 v[192:193], v[8:9], v[140:141], v[2:3]
	ds_load_b128 v[2:5], v255 offset:10400
	ds_load_b128 v[6:9], v255 offset:11440
	s_clause 0x1
	global_load_b128 v[148:151], v[0:1], off offset:992
	global_load_b128 v[152:155], v[0:1], off offset:1008
	s_waitcnt vmcnt(2) lgkmcnt(1)
	v_mul_f64 v[18:19], v[4:5], v[146:147]
	s_delay_alu instid0(VALU_DEP_1) | instskip(SKIP_1) | instid1(VALU_DEP_2)
	v_fma_f64 v[194:195], v[2:3], v[144:145], -v[18:19]
	v_mul_f64 v[2:3], v[2:3], v[146:147]
	v_add_f64 v[249:250], v[166:167], -v[194:195]
	s_delay_alu instid0(VALU_DEP_2) | instskip(NEXT) | instid1(VALU_DEP_1)
	v_fma_f64 v[196:197], v[4:5], v[144:145], v[2:3]
	v_add_f64 v[247:248], v[168:169], -v[196:197]
	s_waitcnt vmcnt(1) lgkmcnt(0)
	v_mul_f64 v[0:1], v[8:9], v[150:151]
	s_delay_alu instid0(VALU_DEP_1) | instskip(SKIP_1) | instid1(VALU_DEP_1)
	v_fma_f64 v[198:199], v[6:7], v[148:149], -v[0:1]
	v_mul_f64 v[0:1], v[6:7], v[150:151]
	v_fma_f64 v[200:201], v[8:9], v[148:149], v[0:1]
	ds_load_b128 v[0:3], v255 offset:12480
	s_waitcnt vmcnt(0) lgkmcnt(0)
	v_mul_f64 v[4:5], v[0:1], v[154:155]
	s_delay_alu instid0(VALU_DEP_1) | instskip(SKIP_1) | instid1(VALU_DEP_2)
	v_fma_f64 v[202:203], v[2:3], v[152:153], v[4:5]
	v_mul_f64 v[2:3], v[2:3], v[154:155]
	v_add_f64 v[209:210], v[12:13], v[202:203]
	s_delay_alu instid0(VALU_DEP_2) | instskip(SKIP_1) | instid1(VALU_DEP_2)
	v_fma_f64 v[204:205], v[0:1], v[152:153], -v[2:3]
	v_add_f64 v[0:1], v[12:13], -v[202:203]
	v_add_f64 v[20:21], v[10:11], v[204:205]
	s_delay_alu instid0(VALU_DEP_2)
	v_mul_f64 v[6:7], v[0:1], s[20:21]
	v_mul_f64 v[4:5], v[0:1], s[18:19]
	;; [unrolled: 1-line block ×6, first 2 shown]
	v_fma_f64 v[26:27], v[20:21], s[26:27], -v[6:7]
	v_fma_f64 v[28:29], v[20:21], s[26:27], v[6:7]
	v_add_f64 v[6:7], v[10:11], -v[204:205]
	v_fma_f64 v[24:25], v[20:21], s[24:25], -v[4:5]
	v_fma_f64 v[4:5], v[20:21], s[24:25], v[4:5]
	v_fma_f64 v[36:37], v[20:21], s[16:17], -v[18:19]
	v_fma_f64 v[18:19], v[20:21], s[16:17], v[18:19]
	;; [unrolled: 2-line block ×5, first 2 shown]
	v_add_f64 v[253:254], v[14:15], v[28:29]
	v_mul_f64 v[206:207], v[6:7], s[10:11]
	v_mul_f64 v[8:9], v[6:7], s[30:31]
	v_add_f64 v[227:228], v[14:15], v[4:5]
	v_mul_f64 v[20:21], v[6:7], s[18:19]
	v_add_f64 v[4:5], v[14:15], v[18:19]
	v_mul_f64 v[156:157], v[6:7], s[20:21]
	v_mul_f64 v[158:159], v[6:7], s[14:15]
	;; [unrolled: 1-line block ×3, first 2 shown]
	v_add_f64 v[233:234], v[14:15], v[22:23]
	v_add_f64 v[245:246], v[14:15], v[30:31]
	;; [unrolled: 1-line block ×4, first 2 shown]
	v_mul_f64 v[18:19], v[247:248], s[20:21]
	v_fma_f64 v[229:230], v[209:210], s[16:17], -v[206:207]
	v_fma_f64 v[211:212], v[209:210], s[28:29], v[8:9]
	v_fma_f64 v[8:9], v[209:210], s[28:29], -v[8:9]
	v_fma_f64 v[214:215], v[209:210], s[24:25], v[20:21]
	scratch_store_b64 off, v[4:5], off offset:280 ; 8-byte Folded Spill
	v_fma_f64 v[20:21], v[209:210], s[24:25], -v[20:21]
	v_fma_f64 v[216:217], v[209:210], s[26:27], v[156:157]
	v_fma_f64 v[156:157], v[209:210], s[26:27], -v[156:157]
	v_fma_f64 v[223:224], v[209:210], s[22:23], v[158:159]
	;; [unrolled: 2-line block ×3, first 2 shown]
	v_fma_f64 v[231:232], v[209:210], s[12:13], v[6:7]
	v_fma_f64 v[209:210], v[209:210], s[12:13], -v[6:7]
	v_add_f64 v[6:7], v[14:15], v[10:11]
	v_add_f64 v[206:207], v[14:15], v[36:37]
	scratch_store_b64 off, v[0:1], off offset:240 ; 8-byte Folded Spill
	v_add_f64 v[4:5], v[16:17], v[229:230]
	v_add_f64 v[235:236], v[16:17], v[211:212]
	;; [unrolled: 1-line block ×6, first 2 shown]
	v_add_f64 v[229:230], v[172:173], -v[192:193]
	v_add_f64 v[251:252], v[16:17], v[156:157]
	v_add_f64 v[243:244], v[16:17], v[223:224]
	v_add_f64 v[223:224], v[164:165], -v[200:201]
	v_add_f64 v[22:23], v[16:17], v[225:226]
	v_add_f64 v[225:226], v[162:163], -v[198:199]
	v_add_f64 v[0:1], v[16:17], v[209:210]
	scratch_store_b64 off, v[6:7], off offset:224 ; 8-byte Folded Spill
	v_add_f64 v[6:7], v[16:17], v[12:13]
	v_add_f64 v[12:13], v[14:15], v[2:3]
	;; [unrolled: 1-line block ×6, first 2 shown]
	scratch_store_b64 off, v[4:5], off offset:272 ; 8-byte Folded Spill
	v_add_f64 v[4:5], v[14:15], v[38:39]
	v_mul_f64 v[24:25], v[229:230], s[14:15]
	v_mul_f64 v[14:15], v[223:224], s[18:19]
	s_clause 0x1
	scratch_store_b64 off, v[0:1], off offset:248
	scratch_store_b64 off, v[6:7], off offset:232
	v_add_f64 v[6:7], v[16:17], v[214:215]
	v_add_f64 v[215:216], v[162:163], v[198:199]
	scratch_store_b64 off, v[4:5], off offset:264 ; 8-byte Folded Spill
	v_add_f64 v[4:5], v[16:17], v[231:232]
	v_add_f64 v[231:232], v[166:167], v[194:195]
	v_mul_f64 v[16:17], v[225:226], s[18:19]
	v_fma_f64 v[0:1], v[215:216], s[24:25], -v[14:15]
	v_fma_f64 v[14:15], v[215:216], s[24:25], v[14:15]
	scratch_store_b64 off, v[4:5], off offset:256 ; 8-byte Folded Spill
	v_fma_f64 v[20:21], v[231:232], s[26:27], -v[18:19]
	v_fma_f64 v[4:5], v[217:218], s[24:25], v[16:17]
	v_add_f64 v[0:1], v[0:1], v[233:234]
	v_add_f64 v[233:234], v[168:169], v[196:197]
	;; [unrolled: 1-line block ×3, first 2 shown]
	v_fma_f64 v[14:15], v[217:218], s[24:25], -v[16:17]
	v_add_f64 v[4:5], v[4:5], v[235:236]
	v_add_f64 v[235:236], v[174:175], v[186:187]
	;; [unrolled: 1-line block ×3, first 2 shown]
	v_mul_f64 v[20:21], v[249:250], s[20:21]
	v_add_f64 v[10:11], v[14:15], v[10:11]
	v_fma_f64 v[14:15], v[231:232], s[26:27], v[18:19]
	s_delay_alu instid0(VALU_DEP_3) | instskip(NEXT) | instid1(VALU_DEP_2)
	v_fma_f64 v[0:1], v[233:234], s[26:27], v[20:21]
	v_add_f64 v[12:13], v[14:15], v[12:13]
	v_fma_f64 v[14:15], v[233:234], s[26:27], -v[20:21]
	s_delay_alu instid0(VALU_DEP_3) | instskip(SKIP_1) | instid1(VALU_DEP_3)
	v_add_f64 v[28:29], v[0:1], v[4:5]
	v_add_f64 v[0:1], v[170:171], v[190:191]
	;; [unrolled: 1-line block ×3, first 2 shown]
	s_delay_alu instid0(VALU_DEP_2) | instskip(SKIP_1) | instid1(VALU_DEP_2)
	v_fma_f64 v[4:5], v[0:1], s[22:23], -v[24:25]
	v_fma_f64 v[14:15], v[0:1], s[22:23], v[24:25]
	v_add_f64 v[30:31], v[4:5], v[26:27]
	v_add_f64 v[4:5], v[170:171], -v[190:191]
	s_delay_alu instid0(VALU_DEP_3) | instskip(NEXT) | instid1(VALU_DEP_2)
	v_add_f64 v[12:13], v[14:15], v[12:13]
	v_mul_f64 v[26:27], v[4:5], s[14:15]
	s_delay_alu instid0(VALU_DEP_1) | instskip(SKIP_1) | instid1(VALU_DEP_2)
	v_fma_f64 v[34:35], v[209:210], s[22:23], v[26:27]
	v_fma_f64 v[14:15], v[209:210], s[22:23], -v[26:27]
	v_add_f64 v[34:35], v[34:35], v[28:29]
	v_add_f64 v[28:29], v[176:177], -v[188:189]
	s_delay_alu instid0(VALU_DEP_3) | instskip(NEXT) | instid1(VALU_DEP_2)
	v_add_f64 v[10:11], v[14:15], v[10:11]
	v_mul_f64 v[36:37], v[28:29], s[10:11]
	s_delay_alu instid0(VALU_DEP_1) | instskip(SKIP_1) | instid1(VALU_DEP_2)
	v_fma_f64 v[38:39], v[235:236], s[16:17], -v[36:37]
	v_fma_f64 v[14:15], v[235:236], s[16:17], v[36:37]
	v_add_f64 v[38:39], v[38:39], v[30:31]
	v_add_f64 v[30:31], v[174:175], -v[186:187]
	s_delay_alu instid0(VALU_DEP_3) | instskip(NEXT) | instid1(VALU_DEP_2)
	v_add_f64 v[12:13], v[14:15], v[12:13]
	v_mul_f64 v[40:41], v[30:31], s[10:11]
	s_delay_alu instid0(VALU_DEP_1) | instskip(SKIP_1) | instid1(VALU_DEP_2)
	v_fma_f64 v[42:43], v[237:238], s[16:17], v[40:41]
	v_fma_f64 v[14:15], v[237:238], s[16:17], -v[40:41]
	v_add_f64 v[34:35], v[42:43], v[34:35]
	v_add_f64 v[42:43], v[180:181], -v[184:185]
	s_delay_alu instid0(VALU_DEP_3) | instskip(NEXT) | instid1(VALU_DEP_2)
	v_add_f64 v[14:15], v[14:15], v[10:11]
	v_mul_f64 v[46:47], v[42:43], s[8:9]
	s_delay_alu instid0(VALU_DEP_1) | instskip(SKIP_2) | instid1(VALU_DEP_3)
	v_fma_f64 v[156:157], v[44:45], s[12:13], -v[46:47]
	v_fma_f64 v[10:11], v[44:45], s[12:13], v[46:47]
	v_mul_f64 v[46:47], v[42:43], s[36:37]
	v_add_f64 v[156:157], v[156:157], v[38:39]
	v_add_f64 v[38:39], v[178:179], -v[182:183]
	s_delay_alu instid0(VALU_DEP_4) | instskip(NEXT) | instid1(VALU_DEP_2)
	v_add_f64 v[10:11], v[10:11], v[12:13]
	v_mul_f64 v[50:51], v[38:39], s[8:9]
	s_delay_alu instid0(VALU_DEP_1) | instskip(SKIP_2) | instid1(VALU_DEP_3)
	v_fma_f64 v[16:17], v[48:49], s[12:13], -v[50:51]
	v_fma_f64 v[158:159], v[48:49], s[12:13], v[50:51]
	v_mul_f64 v[50:51], v[38:39], s[36:37]
	v_add_f64 v[12:13], v[16:17], v[14:15]
	v_mul_f64 v[14:15], v[223:224], s[14:15]
	s_delay_alu instid0(VALU_DEP_4) | instskip(NEXT) | instid1(VALU_DEP_2)
	v_add_f64 v[158:159], v[158:159], v[34:35]
	v_fma_f64 v[16:17], v[215:216], s[22:23], -v[14:15]
	v_fma_f64 v[14:15], v[215:216], s[22:23], v[14:15]
	s_delay_alu instid0(VALU_DEP_2) | instskip(SKIP_1) | instid1(VALU_DEP_3)
	v_add_f64 v[8:9], v[16:17], v[8:9]
	v_mul_f64 v[16:17], v[225:226], s[14:15]
	v_add_f64 v[14:15], v[14:15], v[227:228]
	v_mul_f64 v[227:228], v[38:39], s[10:11]
	s_delay_alu instid0(VALU_DEP_3) | instskip(SKIP_1) | instid1(VALU_DEP_2)
	v_fma_f64 v[18:19], v[217:218], s[22:23], v[16:17]
	v_fma_f64 v[16:17], v[217:218], s[22:23], -v[16:17]
	v_add_f64 v[6:7], v[18:19], v[6:7]
	v_mul_f64 v[18:19], v[247:248], s[8:9]
	s_delay_alu instid0(VALU_DEP_3) | instskip(SKIP_1) | instid1(VALU_DEP_3)
	v_add_f64 v[16:17], v[16:17], v[219:220]
	v_mul_f64 v[219:220], v[42:43], s[10:11]
	v_fma_f64 v[20:21], v[231:232], s[12:13], -v[18:19]
	v_fma_f64 v[18:19], v[231:232], s[12:13], v[18:19]
	s_delay_alu instid0(VALU_DEP_2) | instskip(SKIP_1) | instid1(VALU_DEP_3)
	v_add_f64 v[8:9], v[20:21], v[8:9]
	v_mul_f64 v[20:21], v[249:250], s[8:9]
	v_add_f64 v[14:15], v[18:19], v[14:15]
	s_delay_alu instid0(VALU_DEP_2) | instskip(SKIP_2) | instid1(VALU_DEP_3)
	v_fma_f64 v[24:25], v[233:234], s[12:13], v[20:21]
	v_fma_f64 v[18:19], v[233:234], s[12:13], -v[20:21]
	v_fma_f64 v[20:21], v[48:49], s[28:29], -v[50:51]
	v_add_f64 v[6:7], v[24:25], v[6:7]
	v_mul_f64 v[24:25], v[229:230], s[38:39]
	s_delay_alu instid0(VALU_DEP_4) | instskip(NEXT) | instid1(VALU_DEP_2)
	v_add_f64 v[16:17], v[18:19], v[16:17]
	v_fma_f64 v[26:27], v[0:1], s[16:17], -v[24:25]
	v_fma_f64 v[18:19], v[0:1], s[16:17], v[24:25]
	v_mul_f64 v[24:25], v[223:224], s[8:9]
	s_delay_alu instid0(VALU_DEP_3) | instskip(SKIP_1) | instid1(VALU_DEP_4)
	v_add_f64 v[8:9], v[26:27], v[8:9]
	v_mul_f64 v[26:27], v[4:5], s[38:39]
	v_add_f64 v[14:15], v[18:19], v[14:15]
	s_delay_alu instid0(VALU_DEP_2) | instskip(SKIP_2) | instid1(VALU_DEP_3)
	v_fma_f64 v[34:35], v[209:210], s[16:17], v[26:27]
	v_fma_f64 v[18:19], v[209:210], s[16:17], -v[26:27]
	v_mul_f64 v[26:27], v[225:226], s[8:9]
	v_add_f64 v[6:7], v[34:35], v[6:7]
	v_mul_f64 v[34:35], v[28:29], s[34:35]
	s_delay_alu instid0(VALU_DEP_4) | instskip(NEXT) | instid1(VALU_DEP_2)
	v_add_f64 v[16:17], v[18:19], v[16:17]
	v_fma_f64 v[36:37], v[235:236], s[26:27], -v[34:35]
	v_fma_f64 v[18:19], v[235:236], s[26:27], v[34:35]
	v_mul_f64 v[34:35], v[247:248], s[40:41]
	s_delay_alu instid0(VALU_DEP_3) | instskip(SKIP_1) | instid1(VALU_DEP_4)
	v_add_f64 v[8:9], v[36:37], v[8:9]
	v_mul_f64 v[36:37], v[30:31], s[34:35]
	v_add_f64 v[14:15], v[18:19], v[14:15]
	s_delay_alu instid0(VALU_DEP_2) | instskip(SKIP_2) | instid1(VALU_DEP_3)
	v_fma_f64 v[18:19], v[237:238], s[26:27], -v[36:37]
	v_fma_f64 v[40:41], v[237:238], s[26:27], v[36:37]
	v_mul_f64 v[36:37], v[249:250], s[40:41]
	v_add_f64 v[16:17], v[18:19], v[16:17]
	v_fma_f64 v[18:19], v[44:45], s[28:29], v[46:47]
	s_delay_alu instid0(VALU_DEP_4)
	v_add_f64 v[40:41], v[40:41], v[6:7]
	v_fma_f64 v[6:7], v[44:45], s[28:29], -v[46:47]
	v_mul_f64 v[46:47], v[4:5], s[36:37]
	v_add_f64 v[16:17], v[20:21], v[16:17]
	v_add_f64 v[14:15], v[18:19], v[14:15]
	v_fma_f64 v[18:19], v[215:216], s[12:13], -v[24:25]
	v_fma_f64 v[20:21], v[217:218], s[12:13], v[26:27]
	v_add_f64 v[6:7], v[6:7], v[8:9]
	v_fma_f64 v[8:9], v[48:49], s[28:29], v[50:51]
	v_mul_f64 v[50:51], v[28:29], s[18:19]
	v_add_f64 v[18:19], v[18:19], v[211:212]
	v_add_f64 v[2:3], v[20:21], v[2:3]
	v_fma_f64 v[20:21], v[231:232], s[22:23], -v[34:35]
	v_add_f64 v[8:9], v[8:9], v[40:41]
	v_mul_f64 v[40:41], v[229:230], s[36:37]
	v_mul_f64 v[211:212], v[30:31], s[18:19]
	s_delay_alu instid0(VALU_DEP_4) | instskip(SKIP_1) | instid1(VALU_DEP_1)
	v_add_f64 v[18:19], v[20:21], v[18:19]
	v_fma_f64 v[20:21], v[233:234], s[22:23], v[36:37]
	v_add_f64 v[2:3], v[20:21], v[2:3]
	v_fma_f64 v[20:21], v[0:1], s[28:29], -v[40:41]
	s_delay_alu instid0(VALU_DEP_1) | instskip(SKIP_1) | instid1(VALU_DEP_1)
	v_add_f64 v[18:19], v[20:21], v[18:19]
	v_fma_f64 v[20:21], v[209:210], s[28:29], v[46:47]
	v_add_f64 v[2:3], v[20:21], v[2:3]
	v_fma_f64 v[20:21], v[235:236], s[24:25], -v[50:51]
	s_delay_alu instid0(VALU_DEP_1) | instskip(SKIP_1) | instid1(VALU_DEP_1)
	;; [unrolled: 5-line block ×3, first 2 shown]
	v_add_f64 v[18:19], v[20:21], v[18:19]
	v_fma_f64 v[20:21], v[48:49], s[16:17], v[227:228]
	v_add_f64 v[20:21], v[20:21], v[2:3]
	v_fma_f64 v[2:3], v[215:216], s[12:13], v[24:25]
	v_fma_f64 v[24:25], v[217:218], s[12:13], -v[26:27]
	v_fma_f64 v[26:27], v[231:232], s[22:23], v[34:35]
	v_fma_f64 v[34:35], v[48:49], s[16:17], -v[227:228]
	s_delay_alu instid0(VALU_DEP_4) | instskip(NEXT) | instid1(VALU_DEP_4)
	v_add_f64 v[2:3], v[2:3], v[253:254]
	v_add_f64 v[24:25], v[24:25], v[251:252]
	v_mul_f64 v[251:252], v[30:31], s[44:45]
	v_mul_f64 v[253:254], v[42:43], s[42:43]
	s_delay_alu instid0(VALU_DEP_4) | instskip(SKIP_2) | instid1(VALU_DEP_2)
	v_add_f64 v[2:3], v[26:27], v[2:3]
	v_fma_f64 v[26:27], v[233:234], s[22:23], -v[36:37]
	v_mul_f64 v[36:37], v[225:226], s[38:39]
	v_add_f64 v[24:25], v[26:27], v[24:25]
	v_fma_f64 v[26:27], v[0:1], s[28:29], v[40:41]
	s_delay_alu instid0(VALU_DEP_3) | instskip(SKIP_1) | instid1(VALU_DEP_3)
	v_fma_f64 v[40:41], v[217:218], s[16:17], v[36:37]
	v_fma_f64 v[36:37], v[217:218], s[16:17], -v[36:37]
	v_add_f64 v[2:3], v[26:27], v[2:3]
	v_fma_f64 v[26:27], v[209:210], s[28:29], -v[46:47]
	v_mul_f64 v[46:47], v[247:248], s[36:37]
	v_add_f64 v[40:41], v[40:41], v[243:244]
	v_add_f64 v[36:37], v[36:37], v[239:240]
	s_delay_alu instid0(VALU_DEP_4) | instskip(SKIP_2) | instid1(VALU_DEP_2)
	v_add_f64 v[24:25], v[26:27], v[24:25]
	v_fma_f64 v[26:27], v[235:236], s[24:25], v[50:51]
	v_fma_f64 v[50:51], v[231:232], s[28:29], -v[46:47]
	v_add_f64 v[2:3], v[26:27], v[2:3]
	v_fma_f64 v[26:27], v[237:238], s[24:25], -v[211:212]
	s_delay_alu instid0(VALU_DEP_1) | instskip(SKIP_1) | instid1(VALU_DEP_2)
	v_add_f64 v[26:27], v[26:27], v[24:25]
	v_fma_f64 v[24:25], v[44:45], s[16:17], v[219:220]
	v_add_f64 v[26:27], v[34:35], v[26:27]
	s_delay_alu instid0(VALU_DEP_2) | instskip(SKIP_1) | instid1(VALU_DEP_1)
	v_add_f64 v[24:25], v[24:25], v[2:3]
	v_mul_f64 v[2:3], v[223:224], s[38:39]
	v_fma_f64 v[34:35], v[215:216], s[16:17], -v[2:3]
	v_fma_f64 v[2:3], v[215:216], s[16:17], v[2:3]
	s_delay_alu instid0(VALU_DEP_2) | instskip(NEXT) | instid1(VALU_DEP_2)
	v_add_f64 v[34:35], v[34:35], v[245:246]
	v_add_f64 v[2:3], v[2:3], v[241:242]
	s_delay_alu instid0(VALU_DEP_2) | instskip(SKIP_1) | instid1(VALU_DEP_1)
	v_add_f64 v[34:35], v[50:51], v[34:35]
	v_mul_f64 v[50:51], v[249:250], s[36:37]
	v_fma_f64 v[211:212], v[233:234], s[28:29], v[50:51]
	s_delay_alu instid0(VALU_DEP_1) | instskip(SKIP_1) | instid1(VALU_DEP_1)
	v_add_f64 v[40:41], v[211:212], v[40:41]
	v_mul_f64 v[211:212], v[229:230], s[20:21]
	v_fma_f64 v[219:220], v[0:1], s[26:27], -v[211:212]
	s_delay_alu instid0(VALU_DEP_1) | instskip(SKIP_1) | instid1(VALU_DEP_1)
	v_add_f64 v[34:35], v[219:220], v[34:35]
	v_mul_f64 v[219:220], v[4:5], s[20:21]
	v_fma_f64 v[227:228], v[209:210], s[26:27], v[219:220]
	s_delay_alu instid0(VALU_DEP_1) | instskip(SKIP_1) | instid1(VALU_DEP_1)
	v_add_f64 v[40:41], v[227:228], v[40:41]
	v_mul_f64 v[227:228], v[28:29], s[44:45]
	v_fma_f64 v[243:244], v[235:236], s[12:13], -v[227:228]
	s_delay_alu instid0(VALU_DEP_1) | instskip(SKIP_1) | instid1(VALU_DEP_1)
	v_add_f64 v[34:35], v[243:244], v[34:35]
	v_fma_f64 v[243:244], v[237:238], s[12:13], v[251:252]
	v_add_f64 v[40:41], v[243:244], v[40:41]
	v_fma_f64 v[243:244], v[44:45], s[24:25], -v[253:254]
	s_delay_alu instid0(VALU_DEP_1) | instskip(SKIP_1) | instid1(VALU_DEP_1)
	v_add_f64 v[243:244], v[243:244], v[34:35]
	v_mul_f64 v[34:35], v[38:39], s[42:43]
	v_fma_f64 v[245:246], v[48:49], s[24:25], v[34:35]
	v_fma_f64 v[34:35], v[48:49], s[24:25], -v[34:35]
	s_delay_alu instid0(VALU_DEP_2) | instskip(SKIP_1) | instid1(VALU_DEP_1)
	v_add_f64 v[245:246], v[245:246], v[40:41]
	v_fma_f64 v[40:41], v[231:232], s[28:29], v[46:47]
	v_add_f64 v[2:3], v[40:41], v[2:3]
	v_fma_f64 v[40:41], v[233:234], s[28:29], -v[50:51]
	s_delay_alu instid0(VALU_DEP_1) | instskip(SKIP_1) | instid1(VALU_DEP_1)
	v_add_f64 v[36:37], v[40:41], v[36:37]
	v_fma_f64 v[40:41], v[0:1], s[26:27], v[211:212]
	v_add_f64 v[2:3], v[40:41], v[2:3]
	v_fma_f64 v[40:41], v[209:210], s[26:27], -v[219:220]
	s_delay_alu instid0(VALU_DEP_1) | instskip(SKIP_1) | instid1(VALU_DEP_1)
	v_add_f64 v[36:37], v[40:41], v[36:37]
	v_fma_f64 v[40:41], v[235:236], s[12:13], v[227:228]
	v_add_f64 v[2:3], v[40:41], v[2:3]
	v_fma_f64 v[40:41], v[237:238], s[12:13], -v[251:252]
	s_delay_alu instid0(VALU_DEP_1) | instskip(SKIP_1) | instid1(VALU_DEP_2)
	v_add_f64 v[36:37], v[40:41], v[36:37]
	v_fma_f64 v[40:41], v[44:45], s[24:25], v[253:254]
	v_add_f64 v[241:242], v[34:35], v[36:37]
	v_mul_f64 v[36:37], v[225:226], s[34:35]
	s_delay_alu instid0(VALU_DEP_3) | instskip(SKIP_1) | instid1(VALU_DEP_3)
	v_add_f64 v[239:240], v[40:41], v[2:3]
	v_mul_f64 v[2:3], v[223:224], s[34:35]
	v_fma_f64 v[40:41], v[217:218], s[26:27], v[36:37]
	s_delay_alu instid0(VALU_DEP_2) | instskip(SKIP_1) | instid1(VALU_DEP_3)
	v_fma_f64 v[34:35], v[215:216], s[26:27], -v[2:3]
	v_fma_f64 v[2:3], v[215:216], s[26:27], v[2:3]
	v_add_f64 v[22:23], v[40:41], v[22:23]
	v_mul_f64 v[40:41], v[247:248], s[18:19]
	s_delay_alu instid0(VALU_DEP_4) | instskip(NEXT) | instid1(VALU_DEP_2)
	v_add_f64 v[34:35], v[34:35], v[206:207]
	v_fma_f64 v[46:47], v[231:232], s[24:25], -v[40:41]
	s_delay_alu instid0(VALU_DEP_1) | instskip(SKIP_1) | instid1(VALU_DEP_1)
	v_add_f64 v[34:35], v[46:47], v[34:35]
	v_mul_f64 v[46:47], v[249:250], s[18:19]
	v_fma_f64 v[50:51], v[233:234], s[24:25], v[46:47]
	s_delay_alu instid0(VALU_DEP_1) | instskip(SKIP_1) | instid1(VALU_DEP_1)
	v_add_f64 v[22:23], v[50:51], v[22:23]
	v_mul_f64 v[50:51], v[229:230], s[44:45]
	v_fma_f64 v[206:207], v[0:1], s[12:13], -v[50:51]
	s_delay_alu instid0(VALU_DEP_1) | instskip(SKIP_1) | instid1(VALU_DEP_1)
	v_add_f64 v[34:35], v[206:207], v[34:35]
	v_mul_f64 v[206:207], v[4:5], s[44:45]
	v_fma_f64 v[211:212], v[209:210], s[12:13], v[206:207]
	s_delay_alu instid0(VALU_DEP_1) | instskip(SKIP_2) | instid1(VALU_DEP_2)
	v_add_f64 v[22:23], v[211:212], v[22:23]
	v_mul_f64 v[211:212], v[28:29], s[36:37]
	v_mul_f64 v[28:29], v[28:29], s[14:15]
	v_fma_f64 v[219:220], v[235:236], s[28:29], -v[211:212]
	s_delay_alu instid0(VALU_DEP_1) | instskip(SKIP_2) | instid1(VALU_DEP_2)
	v_add_f64 v[34:35], v[219:220], v[34:35]
	v_mul_f64 v[219:220], v[30:31], s[36:37]
	v_mul_f64 v[30:31], v[30:31], s[14:15]
	v_fma_f64 v[227:228], v[237:238], s[28:29], v[219:220]
	s_delay_alu instid0(VALU_DEP_1) | instskip(SKIP_2) | instid1(VALU_DEP_2)
	v_add_f64 v[22:23], v[227:228], v[22:23]
	v_mul_f64 v[227:228], v[42:43], s[14:15]
	v_mul_f64 v[42:43], v[42:43], s[34:35]
	v_fma_f64 v[251:252], v[44:45], s[22:23], -v[227:228]
	s_delay_alu instid0(VALU_DEP_1) | instskip(SKIP_2) | instid1(VALU_DEP_2)
	v_add_f64 v[251:252], v[251:252], v[34:35]
	v_mul_f64 v[34:35], v[38:39], s[14:15]
	v_mul_f64 v[38:39], v[38:39], s[34:35]
	v_fma_f64 v[253:254], v[48:49], s[22:23], v[34:35]
	s_delay_alu instid0(VALU_DEP_1)
	v_add_f64 v[253:254], v[253:254], v[22:23]
	scratch_load_b64 v[22:23], off, off offset:280 ; 8-byte Folded Reload
	s_waitcnt vmcnt(0)
	v_add_f64 v[2:3], v[2:3], v[22:23]
	v_fma_f64 v[22:23], v[217:218], s[26:27], -v[36:37]
	scratch_load_b64 v[36:37], off, off offset:272 ; 8-byte Folded Reload
	s_waitcnt vmcnt(0)
	v_add_f64 v[22:23], v[22:23], v[36:37]
	v_fma_f64 v[36:37], v[231:232], s[24:25], v[40:41]
	v_fma_f64 v[40:41], v[48:49], s[22:23], -v[34:35]
	s_delay_alu instid0(VALU_DEP_2) | instskip(SKIP_1) | instid1(VALU_DEP_1)
	v_add_f64 v[2:3], v[36:37], v[2:3]
	v_fma_f64 v[36:37], v[233:234], s[24:25], -v[46:47]
	v_add_f64 v[22:23], v[36:37], v[22:23]
	v_fma_f64 v[36:37], v[0:1], s[12:13], v[50:51]
	scratch_load_b64 v[50:51], off, off offset:256 ; 8-byte Folded Reload
	v_add_f64 v[2:3], v[36:37], v[2:3]
	v_fma_f64 v[36:37], v[209:210], s[12:13], -v[206:207]
	s_delay_alu instid0(VALU_DEP_1) | instskip(SKIP_1) | instid1(VALU_DEP_1)
	v_add_f64 v[22:23], v[36:37], v[22:23]
	v_fma_f64 v[36:37], v[235:236], s[28:29], v[211:212]
	v_add_f64 v[2:3], v[36:37], v[2:3]
	v_fma_f64 v[36:37], v[237:238], s[28:29], -v[219:220]
	s_delay_alu instid0(VALU_DEP_1) | instskip(SKIP_1) | instid1(VALU_DEP_1)
	v_add_f64 v[22:23], v[36:37], v[22:23]
	v_fma_f64 v[36:37], v[44:45], s[22:23], v[227:228]
	v_add_f64 v[34:35], v[36:37], v[2:3]
	s_delay_alu instid0(VALU_DEP_3) | instskip(SKIP_2) | instid1(VALU_DEP_1)
	v_add_f64 v[36:37], v[40:41], v[22:23]
	scratch_load_b64 v[40:41], off, off offset:264 ; 8-byte Folded Reload
	v_mul_f64 v[22:23], v[223:224], s[36:37]
	v_fma_f64 v[2:3], v[215:216], s[28:29], -v[22:23]
	v_fma_f64 v[22:23], v[215:216], s[28:29], v[22:23]
	s_waitcnt vmcnt(0)
	s_delay_alu instid0(VALU_DEP_2) | instskip(SKIP_1) | instid1(VALU_DEP_1)
	v_add_f64 v[2:3], v[2:3], v[40:41]
	v_mul_f64 v[40:41], v[225:226], s[36:37]
	v_fma_f64 v[46:47], v[217:218], s[28:29], v[40:41]
	v_fma_f64 v[40:41], v[217:218], s[28:29], -v[40:41]
	s_delay_alu instid0(VALU_DEP_2) | instskip(SKIP_1) | instid1(VALU_DEP_1)
	v_add_f64 v[46:47], v[46:47], v[50:51]
	v_mul_f64 v[50:51], v[247:248], s[10:11]
	v_fma_f64 v[206:207], v[231:232], s[16:17], -v[50:51]
	s_delay_alu instid0(VALU_DEP_1) | instskip(SKIP_1) | instid1(VALU_DEP_1)
	v_add_f64 v[2:3], v[206:207], v[2:3]
	v_mul_f64 v[206:207], v[249:250], s[10:11]
	v_fma_f64 v[211:212], v[233:234], s[16:17], v[206:207]
	s_delay_alu instid0(VALU_DEP_1) | instskip(SKIP_1) | instid1(VALU_DEP_1)
	v_add_f64 v[46:47], v[211:212], v[46:47]
	v_mul_f64 v[211:212], v[229:230], s[42:43]
	v_fma_f64 v[219:220], v[0:1], s[24:25], -v[211:212]
	v_fma_f64 v[0:1], v[0:1], s[24:25], v[211:212]
	s_delay_alu instid0(VALU_DEP_2) | instskip(SKIP_1) | instid1(VALU_DEP_1)
	v_add_f64 v[2:3], v[219:220], v[2:3]
	v_mul_f64 v[219:220], v[4:5], s[42:43]
	v_fma_f64 v[4:5], v[209:210], s[24:25], v[219:220]
	s_delay_alu instid0(VALU_DEP_1) | instskip(SKIP_2) | instid1(VALU_DEP_2)
	v_add_f64 v[4:5], v[4:5], v[46:47]
	v_fma_f64 v[46:47], v[235:236], s[22:23], -v[28:29]
	v_fma_f64 v[28:29], v[235:236], s[22:23], v[28:29]
	v_add_f64 v[2:3], v[46:47], v[2:3]
	v_fma_f64 v[46:47], v[237:238], s[22:23], v[30:31]
	v_fma_f64 v[30:31], v[237:238], s[22:23], -v[30:31]
	s_delay_alu instid0(VALU_DEP_2) | instskip(SKIP_1) | instid1(VALU_DEP_1)
	v_add_f64 v[4:5], v[46:47], v[4:5]
	v_fma_f64 v[46:47], v[44:45], s[26:27], -v[42:43]
	v_add_f64 v[2:3], v[46:47], v[2:3]
	v_fma_f64 v[46:47], v[48:49], s[26:27], v[38:39]
	v_fma_f64 v[38:39], v[48:49], s[26:27], -v[38:39]
	s_delay_alu instid0(VALU_DEP_2)
	v_add_f64 v[4:5], v[46:47], v[4:5]
	v_fma_f64 v[46:47], v[231:232], s[16:17], v[50:51]
	v_fma_f64 v[50:51], v[233:234], s[16:17], -v[206:207]
	scratch_load_b64 v[206:207], off, off offset:240 ; 8-byte Folded Reload
	s_waitcnt vmcnt(0)
	v_add_f64 v[22:23], v[22:23], v[206:207]
	scratch_load_b64 v[206:207], off, off offset:248 ; 8-byte Folded Reload
	v_add_f64 v[22:23], v[46:47], v[22:23]
	s_delay_alu instid0(VALU_DEP_1) | instskip(NEXT) | instid1(VALU_DEP_1)
	v_add_f64 v[0:1], v[0:1], v[22:23]
	v_add_f64 v[0:1], v[28:29], v[0:1]
	s_waitcnt vmcnt(0)
	v_add_f64 v[40:41], v[40:41], v[206:207]
	v_fma_f64 v[206:207], v[209:210], s[24:25], -v[219:220]
	s_delay_alu instid0(VALU_DEP_2) | instskip(NEXT) | instid1(VALU_DEP_1)
	v_add_f64 v[40:41], v[50:51], v[40:41]
	v_add_f64 v[22:23], v[206:207], v[40:41]
	v_fma_f64 v[40:41], v[44:45], s[26:27], v[42:43]
	s_delay_alu instid0(VALU_DEP_2) | instskip(NEXT) | instid1(VALU_DEP_2)
	v_add_f64 v[22:23], v[30:31], v[22:23]
	v_add_f64 v[28:29], v[40:41], v[0:1]
	scratch_load_b64 v[0:1], off, off offset:224 ; 8-byte Folded Reload
	v_add_f64 v[30:31], v[38:39], v[22:23]
	scratch_load_b64 v[22:23], off, off offset:232 ; 8-byte Folded Reload
	s_waitcnt vmcnt(1)
	v_add_f64 v[0:1], v[0:1], v[162:163]
	s_waitcnt vmcnt(0)
	v_add_f64 v[22:23], v[22:23], v[164:165]
	s_delay_alu instid0(VALU_DEP_2) | instskip(NEXT) | instid1(VALU_DEP_2)
	v_add_f64 v[0:1], v[0:1], v[166:167]
	v_add_f64 v[22:23], v[22:23], v[168:169]
	s_delay_alu instid0(VALU_DEP_2) | instskip(NEXT) | instid1(VALU_DEP_2)
	v_add_f64 v[0:1], v[0:1], v[170:171]
	;; [unrolled: 3-line block ×10, first 2 shown]
	v_add_f64 v[164:165], v[22:23], v[202:203]
	ds_store_b128 v255, v[6:9] offset:2080
	ds_store_b128 v255, v[18:21] offset:3120
	ds_store_b128 v255, v[243:246] offset:4160
	ds_store_b128 v255, v[251:254] offset:5200
	ds_store_b128 v255, v[2:5] offset:6240
	ds_store_b128 v255, v[28:31] offset:7280
	ds_store_b128 v255, v[34:37] offset:8320
	ds_store_b128 v255, v[239:242] offset:9360
	ds_store_b128 v255, v[24:27] offset:10400
	ds_store_b128 v255, v[14:17] offset:11440
	ds_store_b128 v255, v[10:13] offset:12480
	ds_store_b128 v255, v[156:159] offset:1040
	ds_store_b128 v255, v[162:165]
	v_add_co_u32 v16, s0, 0x34d0, v222
	s_delay_alu instid0(VALU_DEP_1)
	v_add_co_ci_u32_e64 v17, s0, 0, v213, s0
	s_waitcnt lgkmcnt(0)
	s_waitcnt_vscnt null, 0x0
	s_barrier
	buffer_gl0_inv
	s_clause 0x1
	global_load_b128 v[0:3], v[160:161], off offset:1232
	global_load_b128 v[4:7], v[16:17], off offset:1040
	ds_load_b128 v[8:11], v255
	ds_load_b128 v[12:15], v255 offset:1040
	s_waitcnt vmcnt(1) lgkmcnt(1)
	v_mul_f64 v[18:19], v[10:11], v[2:3]
	v_mul_f64 v[2:3], v[8:9], v[2:3]
	s_delay_alu instid0(VALU_DEP_2) | instskip(NEXT) | instid1(VALU_DEP_2)
	v_fma_f64 v[156:157], v[8:9], v[0:1], -v[18:19]
	v_fma_f64 v[158:159], v[10:11], v[0:1], v[2:3]
	s_waitcnt vmcnt(0) lgkmcnt(0)
	v_mul_f64 v[0:1], v[14:15], v[6:7]
	v_mul_f64 v[2:3], v[12:13], v[6:7]
	s_delay_alu instid0(VALU_DEP_2) | instskip(NEXT) | instid1(VALU_DEP_2)
	v_fma_f64 v[160:161], v[12:13], v[4:5], -v[0:1]
	v_fma_f64 v[162:163], v[14:15], v[4:5], v[2:3]
	s_clause 0x1
	global_load_b128 v[0:3], v[16:17], off offset:2080
	global_load_b128 v[4:7], v[16:17], off offset:3120
	ds_load_b128 v[8:11], v255 offset:2080
	ds_load_b128 v[12:15], v255 offset:3120
	s_waitcnt vmcnt(1) lgkmcnt(1)
	v_mul_f64 v[16:17], v[10:11], v[2:3]
	v_mul_f64 v[2:3], v[8:9], v[2:3]
	s_delay_alu instid0(VALU_DEP_2) | instskip(NEXT) | instid1(VALU_DEP_2)
	v_fma_f64 v[164:165], v[8:9], v[0:1], -v[16:17]
	v_fma_f64 v[166:167], v[10:11], v[0:1], v[2:3]
	s_waitcnt vmcnt(0) lgkmcnt(0)
	v_mul_f64 v[0:1], v[14:15], v[6:7]
	v_mul_f64 v[2:3], v[12:13], v[6:7]
	v_add_co_u32 v16, s0, 0x4000, v222
	s_delay_alu instid0(VALU_DEP_1) | instskip(SKIP_1) | instid1(VALU_DEP_1)
	v_add_co_ci_u32_e64 v17, s0, 0, v213, s0
	v_add_co_u32 v34, s0, 0x5000, v222
	v_add_co_ci_u32_e64 v35, s0, 0, v213, s0
	v_add_co_u32 v38, s0, 0x6000, v222
	s_delay_alu instid0(VALU_DEP_1)
	v_add_co_ci_u32_e64 v39, s0, 0, v213, s0
	v_fma_f64 v[168:169], v[12:13], v[4:5], -v[0:1]
	v_fma_f64 v[170:171], v[14:15], v[4:5], v[2:3]
	s_clause 0x1
	global_load_b128 v[0:3], v[16:17], off offset:1296
	global_load_b128 v[4:7], v[16:17], off offset:2336
	ds_load_b128 v[8:11], v255 offset:4160
	ds_load_b128 v[12:15], v255 offset:5200
	s_waitcnt vmcnt(1) lgkmcnt(1)
	v_mul_f64 v[18:19], v[10:11], v[2:3]
	v_mul_f64 v[2:3], v[8:9], v[2:3]
	s_delay_alu instid0(VALU_DEP_2) | instskip(NEXT) | instid1(VALU_DEP_2)
	v_fma_f64 v[8:9], v[8:9], v[0:1], -v[18:19]
	v_fma_f64 v[10:11], v[10:11], v[0:1], v[2:3]
	s_waitcnt vmcnt(0) lgkmcnt(0)
	v_mul_f64 v[0:1], v[14:15], v[6:7]
	v_mul_f64 v[2:3], v[12:13], v[6:7]
	s_delay_alu instid0(VALU_DEP_2) | instskip(NEXT) | instid1(VALU_DEP_2)
	v_fma_f64 v[0:1], v[12:13], v[4:5], -v[0:1]
	v_fma_f64 v[2:3], v[14:15], v[4:5], v[2:3]
	s_clause 0x1
	global_load_b128 v[4:7], v[16:17], off offset:3376
	global_load_b128 v[12:15], v[34:35], off offset:320
	ds_load_b128 v[16:19], v255 offset:6240
	ds_load_b128 v[20:23], v255 offset:7280
	s_waitcnt vmcnt(1) lgkmcnt(1)
	v_mul_f64 v[24:25], v[18:19], v[6:7]
	v_mul_f64 v[6:7], v[16:17], v[6:7]
	s_delay_alu instid0(VALU_DEP_2) | instskip(NEXT) | instid1(VALU_DEP_2)
	v_fma_f64 v[16:17], v[16:17], v[4:5], -v[24:25]
	v_fma_f64 v[18:19], v[18:19], v[4:5], v[6:7]
	s_waitcnt vmcnt(0) lgkmcnt(0)
	v_mul_f64 v[4:5], v[22:23], v[14:15]
	v_mul_f64 v[6:7], v[20:21], v[14:15]
	s_delay_alu instid0(VALU_DEP_2) | instskip(NEXT) | instid1(VALU_DEP_2)
	;; [unrolled: 17-line block ×4, first 2 shown]
	v_fma_f64 v[20:21], v[172:173], v[28:29], -v[20:21]
	v_fma_f64 v[22:23], v[174:175], v[28:29], v[22:23]
	global_load_b128 v[28:31], v[38:39], off offset:1424
	ds_load_b128 v[172:175], v255 offset:12480
	s_waitcnt vmcnt(0) lgkmcnt(0)
	v_mul_f64 v[38:39], v[174:175], v[30:31]
	v_mul_f64 v[30:31], v[172:173], v[30:31]
	s_delay_alu instid0(VALU_DEP_2) | instskip(NEXT) | instid1(VALU_DEP_2)
	v_fma_f64 v[172:173], v[172:173], v[28:29], -v[38:39]
	v_fma_f64 v[174:175], v[174:175], v[28:29], v[30:31]
	ds_store_b128 v255, v[156:159]
	ds_store_b128 v255, v[160:163] offset:1040
	ds_store_b128 v255, v[164:167] offset:2080
	;; [unrolled: 1-line block ×12, first 2 shown]
	s_waitcnt lgkmcnt(0)
	s_barrier
	buffer_gl0_inv
	ds_load_b128 v[156:159], v255
	ds_load_b128 v[160:163], v255 offset:1040
	ds_load_b128 v[164:167], v255 offset:2080
	;; [unrolled: 1-line block ×9, first 2 shown]
	s_waitcnt lgkmcnt(8)
	v_add_f64 v[0:1], v[156:157], v[160:161]
	v_add_f64 v[2:3], v[158:159], v[162:163]
	s_waitcnt lgkmcnt(1)
	v_add_f64 v[20:21], v[178:179], v[10:11]
	v_add_f64 v[22:23], v[178:179], -v[10:11]
	s_waitcnt lgkmcnt(0)
	v_add_f64 v[196:197], v[174:175], v[14:15]
	v_add_f64 v[202:203], v[174:175], -v[14:15]
	v_add_f64 v[192:193], v[182:183], v[186:187]
	v_add_f64 v[194:195], v[182:183], -v[186:187]
	v_add_f64 v[0:1], v[0:1], v[164:165]
	v_add_f64 v[2:3], v[2:3], v[166:167]
	s_delay_alu instid0(VALU_DEP_2) | instskip(NEXT) | instid1(VALU_DEP_2)
	v_add_f64 v[0:1], v[0:1], v[168:169]
	v_add_f64 v[2:3], v[2:3], v[170:171]
	s_delay_alu instid0(VALU_DEP_2) | instskip(NEXT) | instid1(VALU_DEP_2)
	;; [unrolled: 3-line block ×4, first 2 shown]
	v_add_f64 v[4:5], v[0:1], v[180:181]
	v_add_f64 v[6:7], v[2:3], v[182:183]
	v_add_f64 v[0:1], v[180:181], v[184:185]
	v_add_f64 v[2:3], v[180:181], -v[184:185]
	s_delay_alu instid0(VALU_DEP_4) | instskip(NEXT) | instid1(VALU_DEP_4)
	v_add_f64 v[16:17], v[4:5], v[184:185]
	v_add_f64 v[18:19], v[6:7], v[186:187]
	v_add_f64 v[4:5], v[176:177], v[8:9]
	v_add_f64 v[6:7], v[176:177], -v[8:9]
	s_delay_alu instid0(VALU_DEP_4) | instskip(NEXT) | instid1(VALU_DEP_4)
	;; [unrolled: 5-line block ×3, first 2 shown]
	v_add_f64 v[28:29], v[16:17], v[12:13]
	v_add_f64 v[30:31], v[18:19], v[14:15]
	ds_load_b128 v[16:19], v255 offset:10400
	ds_load_b128 v[24:27], v255 offset:11440
	s_waitcnt lgkmcnt(1)
	v_add_f64 v[12:13], v[168:169], v[16:17]
	v_add_f64 v[204:205], v[170:171], v[18:19]
	v_add_f64 v[14:15], v[168:169], -v[16:17]
	v_add_f64 v[206:207], v[170:171], -v[18:19]
	s_waitcnt lgkmcnt(0)
	v_add_f64 v[209:210], v[166:167], v[26:27]
	v_add_f64 v[211:212], v[166:167], -v[26:27]
	v_add_f64 v[28:29], v[28:29], v[16:17]
	v_add_f64 v[30:31], v[30:31], v[18:19]
	;; [unrolled: 1-line block ×3, first 2 shown]
	v_add_f64 v[18:19], v[164:165], -v[24:25]
	s_delay_alu instid0(VALU_DEP_4) | instskip(NEXT) | instid1(VALU_DEP_4)
	v_add_f64 v[28:29], v[28:29], v[24:25]
	v_add_f64 v[30:31], v[30:31], v[26:27]
	ds_load_b128 v[24:27], v255 offset:12480
	s_waitcnt lgkmcnt(0)
	s_barrier
	buffer_gl0_inv
	v_add_f64 v[34:35], v[162:163], -v[26:27]
	v_add_f64 v[36:37], v[160:161], v[24:25]
	v_add_f64 v[38:39], v[162:163], v[26:27]
	v_add_f64 v[40:41], v[160:161], -v[24:25]
	v_add_f64 v[164:165], v[28:29], v[24:25]
	v_add_f64 v[166:167], v[30:31], v[26:27]
	v_mul_f64 v[24:25], v[34:35], s[30:31]
	v_mul_f64 v[26:27], v[34:35], s[18:19]
	;; [unrolled: 1-line block ×10, first 2 shown]
	v_fma_f64 v[44:45], v[36:37], s[28:29], v[24:25]
	v_fma_f64 v[24:25], v[36:37], s[28:29], -v[24:25]
	v_fma_f64 v[46:47], v[36:37], s[24:25], v[26:27]
	v_fma_f64 v[26:27], v[36:37], s[24:25], -v[26:27]
	;; [unrolled: 2-line block ×6, first 2 shown]
	v_mul_f64 v[36:37], v[38:39], s[28:29]
	v_mul_f64 v[38:39], v[38:39], s[12:13]
	v_fma_f64 v[178:179], v[40:41], s[42:43], v[168:169]
	v_fma_f64 v[180:181], v[40:41], s[18:19], v[168:169]
	;; [unrolled: 1-line block ×8, first 2 shown]
	v_add_f64 v[168:169], v[156:157], v[24:25]
	v_add_f64 v[217:218], v[156:157], v[26:27]
	;; [unrolled: 1-line block ×8, first 2 shown]
	v_mul_f64 v[42:43], v[206:207], s[8:9]
	v_add_f64 v[200:201], v[156:157], v[34:35]
	v_fma_f64 v[176:177], v[40:41], s[36:37], v[36:37]
	v_fma_f64 v[36:37], v[40:41], s[30:31], v[36:37]
	;; [unrolled: 1-line block ×4, first 2 shown]
	v_add_f64 v[40:41], v[156:157], v[44:45]
	v_add_f64 v[219:220], v[158:159], v[180:181]
	v_mul_f64 v[180:181], v[206:207], s[20:21]
	v_add_f64 v[222:223], v[158:159], v[182:183]
	v_mul_f64 v[182:183], v[204:205], s[26:27]
	;; [unrolled: 2-line block ×5, first 2 shown]
	v_add_f64 v[232:233], v[158:159], v[172:173]
	v_add_f64 v[213:214], v[158:159], v[174:175]
	;; [unrolled: 1-line block ×4, first 2 shown]
	v_mul_f64 v[176:177], v[211:212], s[18:19]
	v_add_f64 v[170:171], v[158:159], v[36:37]
	v_add_f64 v[36:37], v[156:157], v[46:47]
	;; [unrolled: 1-line block ×3, first 2 shown]
	v_mul_f64 v[178:179], v[209:210], s[24:25]
	v_fma_f64 v[34:35], v[12:13], s[26:27], v[180:181]
	v_add_f64 v[24:25], v[158:159], v[190:191]
	v_mul_f64 v[190:191], v[20:21], s[16:17]
	v_add_f64 v[198:199], v[158:159], v[38:39]
	v_mul_f64 v[38:39], v[194:195], s[8:9]
	v_fma_f64 v[28:29], v[16:17], s[24:25], v[176:177]
	v_fma_f64 v[30:31], v[18:19], s[42:43], v[178:179]
	s_delay_alu instid0(VALU_DEP_2) | instskip(SKIP_1) | instid1(VALU_DEP_3)
	v_add_f64 v[28:29], v[28:29], v[40:41]
	v_mul_f64 v[40:41], v[192:193], s[12:13]
	v_add_f64 v[30:31], v[30:31], v[44:45]
	v_fma_f64 v[44:45], v[12:13], s[12:13], v[42:43]
	v_fma_f64 v[42:43], v[12:13], s[12:13], -v[42:43]
	v_add_f64 v[28:29], v[34:35], v[28:29]
	v_fma_f64 v[34:35], v[14:15], s[34:35], v[182:183]
	s_delay_alu instid0(VALU_DEP_1) | instskip(SKIP_1) | instid1(VALU_DEP_1)
	v_add_f64 v[30:31], v[34:35], v[30:31]
	v_fma_f64 v[34:35], v[8:9], s[22:23], v[184:185]
	v_add_f64 v[28:29], v[34:35], v[28:29]
	v_fma_f64 v[34:35], v[10:11], s[40:41], v[186:187]
	s_delay_alu instid0(VALU_DEP_1) | instskip(SKIP_1) | instid1(VALU_DEP_1)
	v_add_f64 v[30:31], v[34:35], v[30:31]
	v_fma_f64 v[34:35], v[4:5], s[16:17], v[188:189]
	;; [unrolled: 5-line block ×3, first 2 shown]
	v_add_f64 v[172:173], v[34:35], v[28:29]
	v_fma_f64 v[28:29], v[2:3], s[44:45], v[40:41]
	v_mul_f64 v[34:35], v[211:212], s[14:15]
	s_delay_alu instid0(VALU_DEP_2) | instskip(NEXT) | instid1(VALU_DEP_2)
	v_add_f64 v[174:175], v[28:29], v[30:31]
	v_fma_f64 v[28:29], v[16:17], s[22:23], v[34:35]
	v_fma_f64 v[34:35], v[16:17], s[22:23], -v[34:35]
	s_delay_alu instid0(VALU_DEP_2) | instskip(SKIP_1) | instid1(VALU_DEP_3)
	v_add_f64 v[28:29], v[28:29], v[36:37]
	v_mul_f64 v[36:37], v[209:210], s[22:23]
	v_add_f64 v[34:35], v[34:35], v[217:218]
	s_delay_alu instid0(VALU_DEP_3) | instskip(NEXT) | instid1(VALU_DEP_3)
	v_add_f64 v[28:29], v[44:45], v[28:29]
	v_fma_f64 v[30:31], v[18:19], s[40:41], v[36:37]
	v_mul_f64 v[44:45], v[204:205], s[12:13]
	v_fma_f64 v[36:37], v[18:19], s[14:15], v[36:37]
	v_add_f64 v[34:35], v[42:43], v[34:35]
	s_delay_alu instid0(VALU_DEP_4) | instskip(NEXT) | instid1(VALU_DEP_4)
	v_add_f64 v[30:31], v[30:31], v[46:47]
	v_fma_f64 v[46:47], v[14:15], s[44:45], v[44:45]
	s_delay_alu instid0(VALU_DEP_4) | instskip(SKIP_1) | instid1(VALU_DEP_3)
	v_add_f64 v[36:37], v[36:37], v[219:220]
	v_fma_f64 v[42:43], v[14:15], s[8:9], v[44:45]
	v_add_f64 v[30:31], v[46:47], v[30:31]
	v_mul_f64 v[46:47], v[202:203], s[38:39]
	s_delay_alu instid0(VALU_DEP_3) | instskip(NEXT) | instid1(VALU_DEP_2)
	v_add_f64 v[36:37], v[42:43], v[36:37]
	v_fma_f64 v[156:157], v[8:9], s[16:17], v[46:47]
	v_fma_f64 v[42:43], v[8:9], s[16:17], -v[46:47]
	v_mul_f64 v[46:47], v[206:207], s[40:41]
	s_delay_alu instid0(VALU_DEP_3) | instskip(SKIP_1) | instid1(VALU_DEP_4)
	v_add_f64 v[28:29], v[156:157], v[28:29]
	v_mul_f64 v[156:157], v[196:197], s[16:17]
	v_add_f64 v[34:35], v[42:43], v[34:35]
	s_delay_alu instid0(VALU_DEP_2) | instskip(SKIP_1) | instid1(VALU_DEP_2)
	v_fma_f64 v[158:159], v[10:11], s[10:11], v[156:157]
	v_fma_f64 v[42:43], v[10:11], s[38:39], v[156:157]
	v_add_f64 v[30:31], v[158:159], v[30:31]
	v_mul_f64 v[158:159], v[22:23], s[34:35]
	s_delay_alu instid0(VALU_DEP_3) | instskip(NEXT) | instid1(VALU_DEP_2)
	v_add_f64 v[36:37], v[42:43], v[36:37]
	v_fma_f64 v[160:161], v[4:5], s[26:27], v[158:159]
	v_fma_f64 v[42:43], v[4:5], s[26:27], -v[158:159]
	s_delay_alu instid0(VALU_DEP_2) | instskip(SKIP_1) | instid1(VALU_DEP_3)
	v_add_f64 v[28:29], v[160:161], v[28:29]
	v_mul_f64 v[160:161], v[20:21], s[26:27]
	v_add_f64 v[34:35], v[42:43], v[34:35]
	s_delay_alu instid0(VALU_DEP_2) | instskip(SKIP_1) | instid1(VALU_DEP_2)
	v_fma_f64 v[162:163], v[6:7], s[20:21], v[160:161]
	v_fma_f64 v[42:43], v[6:7], s[34:35], v[160:161]
	v_add_f64 v[30:31], v[162:163], v[30:31]
	v_mul_f64 v[162:163], v[194:195], s[36:37]
	s_delay_alu instid0(VALU_DEP_3) | instskip(NEXT) | instid1(VALU_DEP_2)
	v_add_f64 v[36:37], v[42:43], v[36:37]
	v_fma_f64 v[238:239], v[0:1], s[28:29], v[162:163]
	v_fma_f64 v[42:43], v[0:1], s[28:29], -v[162:163]
	s_delay_alu instid0(VALU_DEP_2) | instskip(SKIP_1) | instid1(VALU_DEP_3)
	v_add_f64 v[28:29], v[238:239], v[28:29]
	v_mul_f64 v[238:239], v[192:193], s[28:29]
	v_add_f64 v[160:161], v[42:43], v[34:35]
	v_mul_f64 v[42:43], v[211:212], s[8:9]
	s_delay_alu instid0(VALU_DEP_3) | instskip(SKIP_1) | instid1(VALU_DEP_3)
	v_fma_f64 v[44:45], v[2:3], s[36:37], v[238:239]
	v_fma_f64 v[240:241], v[2:3], s[30:31], v[238:239]
	;; [unrolled: 1-line block ×3, first 2 shown]
	v_fma_f64 v[42:43], v[16:17], s[12:13], -v[42:43]
	s_delay_alu instid0(VALU_DEP_4) | instskip(SKIP_1) | instid1(VALU_DEP_4)
	v_add_f64 v[162:163], v[44:45], v[36:37]
	v_mul_f64 v[44:45], v[209:210], s[12:13]
	v_add_f64 v[34:35], v[34:35], v[48:49]
	v_fma_f64 v[48:49], v[12:13], s[22:23], v[46:47]
	v_add_f64 v[42:43], v[42:43], v[224:225]
	v_fma_f64 v[46:47], v[12:13], s[22:23], -v[46:47]
	v_mul_f64 v[224:225], v[202:203], s[20:21]
	v_add_f64 v[30:31], v[240:241], v[30:31]
	v_fma_f64 v[36:37], v[18:19], s[44:45], v[44:45]
	v_fma_f64 v[44:45], v[18:19], s[8:9], v[44:45]
	v_add_f64 v[34:35], v[48:49], v[34:35]
	v_mul_f64 v[48:49], v[204:205], s[22:23]
	v_add_f64 v[42:43], v[46:47], v[42:43]
	v_add_f64 v[36:37], v[36:37], v[222:223]
	;; [unrolled: 1-line block ×3, first 2 shown]
	v_mul_f64 v[226:227], v[196:197], s[26:27]
	v_fma_f64 v[156:157], v[14:15], s[14:15], v[48:49]
	v_fma_f64 v[46:47], v[14:15], s[40:41], v[48:49]
	s_delay_alu instid0(VALU_DEP_2) | instskip(SKIP_1) | instid1(VALU_DEP_3)
	v_add_f64 v[36:37], v[156:157], v[36:37]
	v_mul_f64 v[156:157], v[202:203], s[36:37]
	v_add_f64 v[44:45], v[46:47], v[44:45]
	s_delay_alu instid0(VALU_DEP_2) | instskip(SKIP_1) | instid1(VALU_DEP_2)
	v_fma_f64 v[158:159], v[8:9], s[28:29], v[156:157]
	v_fma_f64 v[46:47], v[8:9], s[28:29], -v[156:157]
	v_add_f64 v[34:35], v[158:159], v[34:35]
	v_mul_f64 v[158:159], v[196:197], s[28:29]
	s_delay_alu instid0(VALU_DEP_3) | instskip(NEXT) | instid1(VALU_DEP_2)
	v_add_f64 v[42:43], v[46:47], v[42:43]
	v_fma_f64 v[217:218], v[10:11], s[30:31], v[158:159]
	v_fma_f64 v[46:47], v[10:11], s[36:37], v[158:159]
	s_delay_alu instid0(VALU_DEP_2) | instskip(SKIP_1) | instid1(VALU_DEP_3)
	v_add_f64 v[36:37], v[217:218], v[36:37]
	v_mul_f64 v[217:218], v[22:23], s[18:19]
	v_add_f64 v[44:45], v[46:47], v[44:45]
	s_delay_alu instid0(VALU_DEP_2) | instskip(SKIP_1) | instid1(VALU_DEP_2)
	v_fma_f64 v[219:220], v[4:5], s[24:25], v[217:218]
	v_fma_f64 v[46:47], v[4:5], s[24:25], -v[217:218]
	v_add_f64 v[34:35], v[219:220], v[34:35]
	v_mul_f64 v[219:220], v[20:21], s[24:25]
	s_delay_alu instid0(VALU_DEP_3) | instskip(NEXT) | instid1(VALU_DEP_2)
	v_add_f64 v[42:43], v[46:47], v[42:43]
	v_fma_f64 v[222:223], v[6:7], s[42:43], v[219:220]
	v_fma_f64 v[46:47], v[6:7], s[18:19], v[219:220]
	s_delay_alu instid0(VALU_DEP_2) | instskip(SKIP_1) | instid1(VALU_DEP_3)
	v_add_f64 v[36:37], v[222:223], v[36:37]
	v_mul_f64 v[222:223], v[194:195], s[10:11]
	v_add_f64 v[44:45], v[46:47], v[44:45]
	s_delay_alu instid0(VALU_DEP_2) | instskip(SKIP_2) | instid1(VALU_DEP_3)
	v_fma_f64 v[238:239], v[0:1], s[16:17], v[222:223]
	v_fma_f64 v[46:47], v[0:1], s[16:17], -v[222:223]
	v_mul_f64 v[222:223], v[204:205], s[28:29]
	v_add_f64 v[34:35], v[238:239], v[34:35]
	v_mul_f64 v[238:239], v[192:193], s[16:17]
	s_delay_alu instid0(VALU_DEP_4) | instskip(SKIP_2) | instid1(VALU_DEP_4)
	v_add_f64 v[156:157], v[46:47], v[42:43]
	v_mul_f64 v[42:43], v[211:212], s[38:39]
	v_mul_f64 v[46:47], v[209:210], s[16:17]
	v_fma_f64 v[48:49], v[2:3], s[10:11], v[238:239]
	v_fma_f64 v[240:241], v[2:3], s[38:39], v[238:239]
	v_mul_f64 v[238:239], v[20:21], s[12:13]
	s_delay_alu instid0(VALU_DEP_3)
	v_add_f64 v[158:159], v[48:49], v[44:45]
	v_fma_f64 v[44:45], v[16:17], s[16:17], v[42:43]
	v_fma_f64 v[48:49], v[18:19], s[10:11], v[46:47]
	v_add_f64 v[36:37], v[240:241], v[36:37]
	v_mul_f64 v[240:241], v[194:195], s[42:43]
	v_fma_f64 v[42:43], v[16:17], s[16:17], -v[42:43]
	v_fma_f64 v[46:47], v[18:19], s[38:39], v[46:47]
	v_add_f64 v[44:45], v[44:45], v[50:51]
	v_mul_f64 v[50:51], v[206:207], s[36:37]
	v_add_f64 v[48:49], v[48:49], v[228:229]
	v_mul_f64 v[228:229], v[22:23], s[44:45]
	v_add_f64 v[42:43], v[42:43], v[230:231]
	v_add_f64 v[46:47], v[46:47], v[232:233]
	v_mul_f64 v[230:231], v[204:205], s[24:25]
	v_mul_f64 v[232:233], v[202:203], s[44:45]
	v_fma_f64 v[217:218], v[12:13], s[28:29], v[50:51]
	s_delay_alu instid0(VALU_DEP_1) | instskip(SKIP_1) | instid1(VALU_DEP_1)
	v_add_f64 v[44:45], v[217:218], v[44:45]
	v_fma_f64 v[217:218], v[14:15], s[30:31], v[222:223]
	v_add_f64 v[48:49], v[217:218], v[48:49]
	v_fma_f64 v[217:218], v[8:9], s[26:27], v[224:225]
	s_delay_alu instid0(VALU_DEP_1) | instskip(SKIP_1) | instid1(VALU_DEP_1)
	v_add_f64 v[44:45], v[217:218], v[44:45]
	v_fma_f64 v[217:218], v[10:11], s[34:35], v[226:227]
	v_add_f64 v[48:49], v[217:218], v[48:49]
	;; [unrolled: 5-line block ×3, first 2 shown]
	v_fma_f64 v[217:218], v[0:1], s[24:25], v[240:241]
	s_delay_alu instid0(VALU_DEP_1) | instskip(SKIP_1) | instid1(VALU_DEP_1)
	v_add_f64 v[217:218], v[217:218], v[44:45]
	v_mul_f64 v[44:45], v[192:193], s[24:25]
	v_fma_f64 v[219:220], v[2:3], s[18:19], v[44:45]
	v_fma_f64 v[44:45], v[2:3], s[42:43], v[44:45]
	s_delay_alu instid0(VALU_DEP_2) | instskip(SKIP_2) | instid1(VALU_DEP_2)
	v_add_f64 v[219:220], v[219:220], v[48:49]
	v_fma_f64 v[48:49], v[12:13], s[28:29], -v[50:51]
	v_mul_f64 v[50:51], v[206:207], s[18:19]
	v_add_f64 v[42:43], v[48:49], v[42:43]
	v_fma_f64 v[48:49], v[14:15], s[36:37], v[222:223]
	s_delay_alu instid0(VALU_DEP_1) | instskip(SKIP_1) | instid1(VALU_DEP_1)
	v_add_f64 v[46:47], v[48:49], v[46:47]
	v_fma_f64 v[48:49], v[8:9], s[26:27], -v[224:225]
	v_add_f64 v[42:43], v[48:49], v[42:43]
	v_fma_f64 v[48:49], v[10:11], s[20:21], v[226:227]
	v_fma_f64 v[226:227], v[12:13], s[24:25], v[50:51]
	s_delay_alu instid0(VALU_DEP_2) | instskip(SKIP_1) | instid1(VALU_DEP_1)
	v_add_f64 v[46:47], v[48:49], v[46:47]
	v_fma_f64 v[48:49], v[4:5], s[12:13], -v[228:229]
	v_add_f64 v[42:43], v[48:49], v[42:43]
	v_fma_f64 v[48:49], v[6:7], s[44:45], v[238:239]
	v_mul_f64 v[238:239], v[20:21], s[28:29]
	s_delay_alu instid0(VALU_DEP_2) | instskip(SKIP_3) | instid1(VALU_DEP_4)
	v_add_f64 v[46:47], v[48:49], v[46:47]
	v_fma_f64 v[48:49], v[0:1], s[24:25], -v[240:241]
	v_mul_f64 v[240:241], v[194:195], s[14:15]
	v_mul_f64 v[194:195], v[194:195], s[34:35]
	v_add_f64 v[224:225], v[44:45], v[46:47]
	s_delay_alu instid0(VALU_DEP_4) | instskip(SKIP_2) | instid1(VALU_DEP_2)
	v_add_f64 v[222:223], v[48:49], v[42:43]
	v_mul_f64 v[42:43], v[211:212], s[34:35]
	v_mul_f64 v[46:47], v[209:210], s[26:27]
	v_fma_f64 v[44:45], v[16:17], s[26:27], v[42:43]
	s_delay_alu instid0(VALU_DEP_2) | instskip(SKIP_2) | instid1(VALU_DEP_4)
	v_fma_f64 v[48:49], v[18:19], s[20:21], v[46:47]
	v_fma_f64 v[42:43], v[16:17], s[26:27], -v[42:43]
	v_fma_f64 v[46:47], v[18:19], s[34:35], v[46:47]
	v_add_f64 v[44:45], v[44:45], v[234:235]
	s_delay_alu instid0(VALU_DEP_4)
	v_add_f64 v[48:49], v[48:49], v[236:237]
	v_mul_f64 v[234:235], v[196:197], s[12:13]
	v_mul_f64 v[236:237], v[22:23], s[36:37]
	v_add_f64 v[42:43], v[42:43], v[215:216]
	v_add_f64 v[46:47], v[46:47], v[213:214]
	v_mul_f64 v[196:197], v[196:197], s[24:25]
	v_add_f64 v[44:45], v[226:227], v[44:45]
	v_fma_f64 v[226:227], v[14:15], s[42:43], v[230:231]
	s_delay_alu instid0(VALU_DEP_1) | instskip(SKIP_1) | instid1(VALU_DEP_1)
	v_add_f64 v[48:49], v[226:227], v[48:49]
	v_fma_f64 v[226:227], v[8:9], s[12:13], v[232:233]
	v_add_f64 v[44:45], v[226:227], v[44:45]
	v_fma_f64 v[226:227], v[10:11], s[8:9], v[234:235]
	s_delay_alu instid0(VALU_DEP_1) | instskip(SKIP_1) | instid1(VALU_DEP_1)
	v_add_f64 v[48:49], v[226:227], v[48:49]
	v_fma_f64 v[226:227], v[4:5], s[28:29], v[236:237]
	;; [unrolled: 5-line block ×3, first 2 shown]
	v_add_f64 v[226:227], v[226:227], v[44:45]
	v_mul_f64 v[44:45], v[192:193], s[22:23]
	v_mul_f64 v[192:193], v[192:193], s[26:27]
	s_delay_alu instid0(VALU_DEP_2) | instskip(SKIP_1) | instid1(VALU_DEP_2)
	v_fma_f64 v[228:229], v[2:3], s[40:41], v[44:45]
	v_fma_f64 v[44:45], v[2:3], s[14:15], v[44:45]
	v_add_f64 v[228:229], v[228:229], v[48:49]
	v_fma_f64 v[48:49], v[12:13], s[24:25], -v[50:51]
	s_delay_alu instid0(VALU_DEP_1) | instskip(SKIP_1) | instid1(VALU_DEP_1)
	v_add_f64 v[42:43], v[48:49], v[42:43]
	v_fma_f64 v[48:49], v[14:15], s[18:19], v[230:231]
	v_add_f64 v[46:47], v[48:49], v[46:47]
	v_fma_f64 v[48:49], v[8:9], s[12:13], -v[232:233]
	s_delay_alu instid0(VALU_DEP_1) | instskip(SKIP_1) | instid1(VALU_DEP_1)
	v_add_f64 v[42:43], v[48:49], v[42:43]
	;; [unrolled: 5-line block ×3, first 2 shown]
	v_fma_f64 v[48:49], v[6:7], s[36:37], v[238:239]
	v_add_f64 v[46:47], v[48:49], v[46:47]
	v_fma_f64 v[48:49], v[0:1], s[22:23], -v[240:241]
	s_delay_alu instid0(VALU_DEP_2) | instskip(NEXT) | instid1(VALU_DEP_2)
	v_add_f64 v[215:216], v[44:45], v[46:47]
	v_add_f64 v[213:214], v[48:49], v[42:43]
	v_mul_f64 v[42:43], v[211:212], s[36:37]
	s_delay_alu instid0(VALU_DEP_1) | instskip(NEXT) | instid1(VALU_DEP_1)
	v_fma_f64 v[44:45], v[16:17], s[28:29], v[42:43]
	v_add_f64 v[26:27], v[44:45], v[26:27]
	v_mul_f64 v[44:45], v[209:210], s[28:29]
	s_delay_alu instid0(VALU_DEP_1) | instskip(NEXT) | instid1(VALU_DEP_1)
	v_fma_f64 v[46:47], v[18:19], s[30:31], v[44:45]
	v_add_f64 v[24:25], v[46:47], v[24:25]
	v_mul_f64 v[46:47], v[206:207], s[10:11]
	s_delay_alu instid0(VALU_DEP_1) | instskip(NEXT) | instid1(VALU_DEP_1)
	v_fma_f64 v[48:49], v[12:13], s[16:17], v[46:47]
	v_add_f64 v[26:27], v[48:49], v[26:27]
	v_mul_f64 v[48:49], v[204:205], s[16:17]
	s_delay_alu instid0(VALU_DEP_1) | instskip(NEXT) | instid1(VALU_DEP_1)
	v_fma_f64 v[50:51], v[14:15], s[38:39], v[48:49]
	v_add_f64 v[24:25], v[50:51], v[24:25]
	v_mul_f64 v[50:51], v[202:203], s[42:43]
	s_delay_alu instid0(VALU_DEP_1) | instskip(NEXT) | instid1(VALU_DEP_1)
	v_fma_f64 v[202:203], v[8:9], s[24:25], v[50:51]
	v_add_f64 v[26:27], v[202:203], v[26:27]
	v_fma_f64 v[202:203], v[10:11], s[18:19], v[196:197]
	s_delay_alu instid0(VALU_DEP_1) | instskip(SKIP_1) | instid1(VALU_DEP_1)
	v_add_f64 v[24:25], v[202:203], v[24:25]
	v_mul_f64 v[202:203], v[22:23], s[14:15]
	v_fma_f64 v[22:23], v[4:5], s[22:23], v[202:203]
	s_delay_alu instid0(VALU_DEP_1) | instskip(SKIP_1) | instid1(VALU_DEP_1)
	v_add_f64 v[22:23], v[22:23], v[26:27]
	v_mul_f64 v[26:27], v[20:21], s[22:23]
	v_fma_f64 v[20:21], v[6:7], s[40:41], v[26:27]
	v_fma_f64 v[26:27], v[6:7], s[14:15], v[26:27]
	v_fma_f64 v[6:7], v[6:7], s[10:11], v[190:191]
	s_delay_alu instid0(VALU_DEP_3) | instskip(SKIP_1) | instid1(VALU_DEP_1)
	v_add_f64 v[24:25], v[20:21], v[24:25]
	v_fma_f64 v[20:21], v[0:1], s[26:27], v[194:195]
	v_add_f64 v[20:21], v[20:21], v[22:23]
	v_fma_f64 v[22:23], v[2:3], s[20:21], v[192:193]
	s_delay_alu instid0(VALU_DEP_1)
	v_add_f64 v[22:23], v[22:23], v[24:25]
	v_fma_f64 v[24:25], v[16:17], s[28:29], -v[42:43]
	v_fma_f64 v[42:43], v[18:19], s[36:37], v[44:45]
	v_fma_f64 v[44:45], v[12:13], s[16:17], -v[46:47]
	v_fma_f64 v[16:17], v[16:17], s[24:25], -v[176:177]
	v_fma_f64 v[18:19], v[18:19], s[18:19], v[178:179]
	v_fma_f64 v[12:13], v[12:13], s[26:27], -v[180:181]
	v_add_f64 v[24:25], v[24:25], v[200:201]
	v_add_f64 v[42:43], v[42:43], v[198:199]
	;; [unrolled: 1-line block ×4, first 2 shown]
	s_delay_alu instid0(VALU_DEP_4) | instskip(SKIP_3) | instid1(VALU_DEP_3)
	v_add_f64 v[24:25], v[44:45], v[24:25]
	v_fma_f64 v[44:45], v[14:15], s[10:11], v[48:49]
	v_fma_f64 v[14:15], v[14:15], s[20:21], v[182:183]
	v_add_f64 v[12:13], v[12:13], v[16:17]
	v_add_f64 v[42:43], v[44:45], v[42:43]
	v_fma_f64 v[44:45], v[8:9], s[24:25], -v[50:51]
	v_fma_f64 v[8:9], v[8:9], s[22:23], -v[184:185]
	v_add_f64 v[14:15], v[14:15], v[18:19]
	s_delay_alu instid0(VALU_DEP_3) | instskip(SKIP_3) | instid1(VALU_DEP_3)
	v_add_f64 v[24:25], v[44:45], v[24:25]
	v_fma_f64 v[44:45], v[10:11], s[42:43], v[196:197]
	v_fma_f64 v[10:11], v[10:11], s[14:15], v[186:187]
	v_add_f64 v[8:9], v[8:9], v[12:13]
	v_add_f64 v[42:43], v[44:45], v[42:43]
	v_fma_f64 v[44:45], v[4:5], s[22:23], -v[202:203]
	v_fma_f64 v[4:5], v[4:5], s[16:17], -v[188:189]
	v_add_f64 v[10:11], v[10:11], v[14:15]
	s_delay_alu instid0(VALU_DEP_4) | instskip(NEXT) | instid1(VALU_DEP_4)
	v_add_f64 v[26:27], v[26:27], v[42:43]
	v_add_f64 v[24:25], v[44:45], v[24:25]
	v_fma_f64 v[42:43], v[0:1], s[26:27], -v[194:195]
	v_fma_f64 v[44:45], v[2:3], s[34:35], v[192:193]
	v_fma_f64 v[0:1], v[0:1], s[12:13], -v[38:39]
	v_fma_f64 v[2:3], v[2:3], s[8:9], v[40:41]
	v_add_f64 v[4:5], v[4:5], v[8:9]
	v_add_f64 v[6:7], v[6:7], v[10:11]
	;; [unrolled: 1-line block ×4, first 2 shown]
	s_delay_alu instid0(VALU_DEP_4) | instskip(NEXT) | instid1(VALU_DEP_4)
	v_add_f64 v[168:169], v[0:1], v[4:5]
	v_add_f64 v[170:171], v[2:3], v[6:7]
	ds_store_b128 v221, v[28:31] offset:32
	ds_store_b128 v221, v[34:37] offset:48
	;; [unrolled: 1-line block ×9, first 2 shown]
	ds_store_b128 v221, v[164:167]
	ds_store_b128 v221, v[156:159] offset:160
	ds_store_b128 v221, v[160:163] offset:176
	ds_store_b128 v221, v[168:171] offset:192
	s_waitcnt lgkmcnt(0)
	s_barrier
	buffer_gl0_inv
	ds_load_b128 v[164:167], v255
	ds_load_b128 v[172:175], v255 offset:1040
	ds_load_b128 v[192:195], v255 offset:2704
	;; [unrolled: 1-line block ×9, first 2 shown]
	s_and_saveexec_b32 s0, vcc_lo
	s_cbranch_execz .LBB0_7
; %bb.6:
	ds_load_b128 v[156:159], v255 offset:2080
	ds_load_b128 v[160:163], v255 offset:4784
	;; [unrolled: 1-line block ×5, first 2 shown]
.LBB0_7:
	s_or_b32 exec_lo, exec_lo, s0
	s_waitcnt lgkmcnt(5)
	v_mul_f64 v[2:3], v[74:75], v[198:199]
	s_waitcnt lgkmcnt(3)
	v_mul_f64 v[4:5], v[78:79], v[202:203]
	v_mul_f64 v[10:11], v[74:75], v[196:197]
	v_mul_f64 v[12:13], v[78:79], v[200:201]
	v_mul_f64 v[0:1], v[70:71], v[194:195]
	v_mul_f64 v[6:7], v[70:71], v[192:193]
	s_waitcnt lgkmcnt(1)
	v_mul_f64 v[8:9], v[82:83], v[206:207]
	v_mul_f64 v[14:15], v[82:83], v[204:205]
	v_mul_f64 v[16:17], v[86:87], v[178:179]
	v_mul_f64 v[18:19], v[90:91], v[182:183]
	;; [unrolled: 6-line block ×3, first 2 shown]
	v_mul_f64 v[30:31], v[98:99], v[188:189]
	s_mov_b32 s0, 0x134454ff
	s_mov_b32 s1, 0xbfee6f0e
	;; [unrolled: 1-line block ×10, first 2 shown]
	s_barrier
	buffer_gl0_inv
	v_fma_f64 v[2:3], v[72:73], v[196:197], v[2:3]
	v_fma_f64 v[4:5], v[76:77], v[200:201], v[4:5]
	v_fma_f64 v[10:11], v[72:73], v[198:199], -v[10:11]
	v_fma_f64 v[12:13], v[76:77], v[202:203], -v[12:13]
	v_fma_f64 v[0:1], v[68:69], v[192:193], v[0:1]
	v_fma_f64 v[6:7], v[68:69], v[194:195], -v[6:7]
	v_fma_f64 v[8:9], v[80:81], v[204:205], v[8:9]
	;; [unrolled: 2-line block ×3, first 2 shown]
	v_fma_f64 v[18:19], v[88:89], v[180:181], v[18:19]
	v_fma_f64 v[20:21], v[92:93], v[184:185], v[20:21]
	;; [unrolled: 1-line block ×3, first 2 shown]
	v_fma_f64 v[26:27], v[88:89], v[182:183], -v[26:27]
	v_fma_f64 v[28:29], v[92:93], v[186:187], -v[28:29]
	;; [unrolled: 1-line block ×4, first 2 shown]
	v_add_f64 v[34:35], v[2:3], v[4:5]
	v_add_f64 v[80:81], v[2:3], -v[4:5]
	v_add_f64 v[38:39], v[10:11], v[12:13]
	v_add_f64 v[50:51], v[164:165], v[0:1]
	;; [unrolled: 1-line block ×5, first 2 shown]
	v_add_f64 v[68:69], v[6:7], -v[14:15]
	v_add_f64 v[74:75], v[172:173], v[16:17]
	v_add_f64 v[42:43], v[18:19], v[20:21]
	;; [unrolled: 1-line block ×3, first 2 shown]
	v_add_f64 v[78:79], v[0:1], -v[8:9]
	v_add_f64 v[46:47], v[26:27], v[28:29]
	v_add_f64 v[70:71], v[10:11], -v[12:13]
	v_add_f64 v[48:49], v[22:23], v[30:31]
	v_add_f64 v[76:77], v[174:175], v[22:23]
	v_add_f64 v[82:83], v[22:23], -v[30:31]
	v_add_f64 v[84:85], v[26:27], -v[28:29]
	;; [unrolled: 1-line block ×15, first 2 shown]
	v_fma_f64 v[34:35], v[34:35], -0.5, v[164:165]
	v_fma_f64 v[38:39], v[38:39], -0.5, v[166:167]
	v_add_f64 v[2:3], v[50:51], v[2:3]
	v_add_f64 v[10:11], v[72:73], v[10:11]
	v_fma_f64 v[36:37], v[36:37], -0.5, v[164:165]
	v_fma_f64 v[40:41], v[40:41], -0.5, v[166:167]
	v_add_f64 v[166:167], v[16:17], -v[18:19]
	v_add_f64 v[16:17], v[18:19], -v[16:17]
	v_fma_f64 v[42:43], v[42:43], -0.5, v[172:173]
	v_fma_f64 v[44:45], v[44:45], -0.5, v[172:173]
	v_add_f64 v[172:173], v[24:25], -v[20:21]
	v_fma_f64 v[46:47], v[46:47], -0.5, v[174:175]
	v_add_f64 v[18:19], v[74:75], v[18:19]
	v_fma_f64 v[48:49], v[48:49], -0.5, v[174:175]
	v_add_f64 v[164:165], v[12:13], -v[14:15]
	v_add_f64 v[174:175], v[20:21], -v[24:25]
	v_add_f64 v[26:27], v[76:77], v[26:27]
	v_add_f64 v[90:91], v[90:91], v[92:93]
	;; [unrolled: 1-line block ×4, first 2 shown]
	v_fma_f64 v[50:51], v[68:69], s[0:1], v[34:35]
	v_fma_f64 v[34:35], v[68:69], s[8:9], v[34:35]
	;; [unrolled: 1-line block ×4, first 2 shown]
	v_add_f64 v[0:1], v[2:3], v[4:5]
	v_fma_f64 v[72:73], v[70:71], s[8:9], v[36:37]
	v_fma_f64 v[36:37], v[70:71], s[0:1], v[36:37]
	;; [unrolled: 1-line block ×12, first 2 shown]
	v_add_f64 v[2:3], v[10:11], v[12:13]
	v_add_f64 v[98:99], v[166:167], v[172:173]
	;; [unrolled: 1-line block ×8, first 2 shown]
	v_fma_f64 v[10:11], v[70:71], s[12:13], v[50:51]
	v_fma_f64 v[12:13], v[70:71], s[10:11], v[34:35]
	;; [unrolled: 1-line block ×4, first 2 shown]
	v_add_f64 v[0:1], v[0:1], v[8:9]
	v_fma_f64 v[16:17], v[68:69], s[12:13], v[72:73]
	v_fma_f64 v[18:19], v[68:69], s[10:11], v[36:37]
	;; [unrolled: 1-line block ×12, first 2 shown]
	v_add_f64 v[2:3], v[2:3], v[14:15]
	v_add_f64 v[4:5], v[4:5], v[24:25]
	;; [unrolled: 1-line block ×3, first 2 shown]
	v_fma_f64 v[8:9], v[90:91], s[14:15], v[10:11]
	v_fma_f64 v[12:13], v[90:91], s[14:15], v[12:13]
	;; [unrolled: 1-line block ×16, first 2 shown]
	ds_store_b128 v33, v[0:3]
	ds_store_b128 v33, v[8:11] offset:208
	ds_store_b128 v33, v[16:19] offset:416
	;; [unrolled: 1-line block ×4, first 2 shown]
	ds_store_b128 v32, v[4:7]
	ds_store_b128 v32, v[24:27] offset:208
	ds_store_b128 v32, v[34:37] offset:416
	ds_store_b128 v32, v[68:71] offset:624
	ds_store_b128 v32, v[28:31] offset:832
	s_and_saveexec_b32 s16, vcc_lo
	s_cbranch_execz .LBB0_9
; %bb.8:
	v_mul_f64 v[0:1], v[58:59], v[168:169]
	v_mul_f64 v[2:3], v[54:55], v[160:161]
	;; [unrolled: 1-line block ×8, first 2 shown]
	v_fma_f64 v[0:1], v[56:57], v[170:171], -v[0:1]
	v_fma_f64 v[2:3], v[52:53], v[162:163], -v[2:3]
	;; [unrolled: 1-line block ×4, first 2 shown]
	v_fma_f64 v[8:9], v[56:57], v[168:169], v[8:9]
	v_fma_f64 v[10:11], v[60:61], v[116:117], v[10:11]
	;; [unrolled: 1-line block ×4, first 2 shown]
	v_add_f64 v[28:29], v[158:159], v[2:3]
	v_add_f64 v[16:17], v[2:3], v[4:5]
	;; [unrolled: 1-line block ×3, first 2 shown]
	v_add_f64 v[32:33], v[2:3], -v[4:5]
	v_add_f64 v[20:21], v[8:9], v[10:11]
	v_add_f64 v[24:25], v[8:9], -v[10:11]
	v_add_f64 v[26:27], v[12:13], -v[14:15]
	v_add_f64 v[30:31], v[156:157], v[12:13]
	v_add_f64 v[22:23], v[12:13], v[14:15]
	v_add_f64 v[34:35], v[0:1], -v[6:7]
	v_add_f64 v[36:37], v[0:1], -v[2:3]
	;; [unrolled: 1-line block ×9, first 2 shown]
	v_add_f64 v[0:1], v[28:29], v[0:1]
	v_fma_f64 v[16:17], v[16:17], -0.5, v[158:159]
	v_fma_f64 v[18:19], v[18:19], -0.5, v[158:159]
	;; [unrolled: 1-line block ×3, first 2 shown]
	v_add_f64 v[8:9], v[30:31], v[8:9]
	v_fma_f64 v[22:23], v[22:23], -0.5, v[156:157]
	v_add_f64 v[36:37], v[36:37], v[38:39]
	v_add_f64 v[38:39], v[2:3], v[40:41]
	;; [unrolled: 1-line block ×5, first 2 shown]
	v_fma_f64 v[28:29], v[24:25], s[8:9], v[16:17]
	v_fma_f64 v[16:17], v[24:25], s[0:1], v[16:17]
	;; [unrolled: 1-line block ×6, first 2 shown]
	v_add_f64 v[6:7], v[8:9], v[10:11]
	v_fma_f64 v[50:51], v[34:35], s[8:9], v[22:23]
	v_fma_f64 v[22:23], v[34:35], s[0:1], v[22:23]
	v_add_f64 v[2:3], v[0:1], v[4:5]
	v_fma_f64 v[8:9], v[26:27], s[12:13], v[28:29]
	v_fma_f64 v[10:11], v[26:27], s[10:11], v[16:17]
	;; [unrolled: 1-line block ×6, first 2 shown]
	v_add_f64 v[0:1], v[6:7], v[14:15]
	v_fma_f64 v[26:27], v[32:33], s[12:13], v[50:51]
	v_fma_f64 v[22:23], v[32:33], s[10:11], v[22:23]
	;; [unrolled: 1-line block ×8, first 2 shown]
	s_clause 0x1
	scratch_load_b32 v20, off, off offset:220
	scratch_load_b32 v21, off, off offset:216
	v_fma_f64 v[8:9], v[40:41], s[14:15], v[26:27]
	v_fma_f64 v[4:5], v[40:41], s[14:15], v[22:23]
	s_waitcnt vmcnt(1)
	v_mul_u32_u24_e32 v20, 0x41, v20
	s_waitcnt vmcnt(0)
	s_delay_alu instid0(VALU_DEP_1)
	v_add_nc_u32_e32 v20, v20, v21
	scratch_load_b32 v21, off, off          ; 4-byte Folded Reload
	s_waitcnt vmcnt(0)
	v_lshl_add_u32 v20, v20, 4, v21
	ds_store_b128 v20, v[0:3]
	ds_store_b128 v20, v[16:19] offset:208
	ds_store_b128 v20, v[8:11] offset:416
	ds_store_b128 v20, v[4:7] offset:624
	ds_store_b128 v20, v[12:15] offset:832
.LBB0_9:
	s_or_b32 exec_lo, exec_lo, s16
	s_waitcnt lgkmcnt(0)
	s_barrier
	buffer_gl0_inv
	ds_load_b128 v[0:3], v255 offset:1040
	ds_load_b128 v[6:9], v255 offset:12480
	;; [unrolled: 1-line block ×4, first 2 shown]
	ds_load_b128 v[52:55], v255
	ds_load_b128 v[18:21], v255 offset:3120
	ds_load_b128 v[22:25], v255 offset:10400
	;; [unrolled: 1-line block ×8, first 2 shown]
	s_mov_b32 s10, 0x4267c47c
	s_mov_b32 s12, 0xe00740e9
	;; [unrolled: 1-line block ×13, first 2 shown]
	s_waitcnt lgkmcnt(12)
	v_mul_f64 v[4:5], v[110:111], v[2:3]
	v_mul_f64 v[38:39], v[110:111], v[0:1]
	s_waitcnt lgkmcnt(11)
	v_mul_f64 v[40:41], v[154:155], v[6:7]
	s_waitcnt lgkmcnt(10)
	v_mul_f64 v[42:43], v[102:103], v[10:11]
	v_mul_f64 v[46:47], v[102:103], v[12:13]
	s_waitcnt lgkmcnt(7)
	v_mul_f64 v[48:49], v[106:107], v[18:19]
	s_waitcnt lgkmcnt(6)
	v_mul_f64 v[50:51], v[146:147], v[22:23]
	v_mul_f64 v[70:71], v[154:155], v[8:9]
	;; [unrolled: 1-line block ×3, first 2 shown]
	s_waitcnt lgkmcnt(5)
	v_mul_f64 v[76:77], v[138:139], v[26:27]
	v_mul_f64 v[78:79], v[146:147], v[24:25]
	;; [unrolled: 1-line block ×5, first 2 shown]
	s_waitcnt lgkmcnt(3)
	v_mul_f64 v[92:93], v[130:131], v[36:37]
	v_mul_f64 v[94:95], v[130:131], v[34:35]
	s_waitcnt lgkmcnt(2)
	v_mul_f64 v[80:81], v[142:143], v[58:59]
	v_mul_f64 v[82:83], v[142:143], v[56:57]
	s_waitcnt lgkmcnt(1)
	v_mul_f64 v[86:87], v[122:123], v[60:61]
	s_waitcnt lgkmcnt(0)
	v_mul_f64 v[88:89], v[134:135], v[66:67]
	v_mul_f64 v[90:91], v[134:135], v[64:65]
	s_mov_b32 s21, 0x3fbedb7d
	s_mov_b32 s27, 0xbfedeba7
	;; [unrolled: 1-line block ×17, first 2 shown]
	v_fma_f64 v[84:85], v[108:109], v[0:1], v[4:5]
	v_fma_f64 v[38:39], v[108:109], v[2:3], -v[38:39]
	v_fma_f64 v[0:1], v[152:153], v[8:9], -v[40:41]
	;; [unrolled: 1-line block ×3, first 2 shown]
	v_mul_f64 v[42:43], v[126:127], v[30:31]
	v_fma_f64 v[20:21], v[104:105], v[20:21], -v[48:49]
	v_fma_f64 v[8:9], v[144:145], v[24:25], -v[50:51]
	v_fma_f64 v[24:25], v[100:101], v[10:11], v[46:47]
	v_fma_f64 v[2:3], v[152:153], v[6:7], v[70:71]
	;; [unrolled: 1-line block ×4, first 2 shown]
	v_fma_f64 v[22:23], v[136:137], v[28:29], -v[76:77]
	v_fma_f64 v[4:5], v[148:149], v[16:17], -v[44:45]
	v_mul_f64 v[16:17], v[126:127], v[32:33]
	v_fma_f64 v[46:47], v[104:105], v[18:19], v[68:69]
	v_mul_f64 v[44:45], v[122:123], v[62:63]
	v_fma_f64 v[26:27], v[136:137], v[26:27], v[72:73]
	v_fma_f64 v[18:19], v[128:129], v[34:35], v[92:93]
	;; [unrolled: 1-line block ×3, first 2 shown]
	v_fma_f64 v[12:13], v[140:141], v[58:59], -v[82:83]
	s_mov_b32 s30, s26
	s_mov_b32 s38, s24
	s_mov_b32 s34, s40
	s_mov_b32 s23, 0x3fefc445
	s_mov_b32 s22, s18
	v_add_f64 v[28:29], v[52:53], v[84:85]
	v_add_f64 v[48:49], v[54:55], v[38:39]
	v_add_f64 v[50:51], v[38:39], -v[0:1]
	v_add_f64 v[38:39], v[38:39], v[0:1]
	v_fma_f64 v[32:33], v[124:125], v[32:33], -v[42:43]
	v_add_f64 v[34:35], v[20:21], -v[8:9]
	v_add_f64 v[68:69], v[24:25], v[6:7]
	v_add_f64 v[70:71], v[24:25], -v[6:7]
	v_add_f64 v[56:57], v[40:41], -v[4:5]
	v_fma_f64 v[30:31], v[124:125], v[30:31], v[16:17]
	v_fma_f64 v[16:17], v[128:129], v[36:37], -v[94:95]
	v_add_f64 v[36:37], v[20:21], v[8:9]
	v_add_f64 v[58:59], v[40:41], v[4:5]
	v_fma_f64 v[42:43], v[120:121], v[60:61], v[44:45]
	v_fma_f64 v[44:45], v[120:121], v[62:63], -v[86:87]
	v_fma_f64 v[60:61], v[132:133], v[64:65], v[88:89]
	v_fma_f64 v[62:63], v[132:133], v[66:67], -v[90:91]
	v_add_f64 v[64:65], v[84:85], v[2:3]
	v_add_f64 v[66:67], v[84:85], -v[2:3]
	v_add_f64 v[72:73], v[46:47], v[10:11]
	v_add_f64 v[74:75], v[46:47], -v[10:11]
	;; [unrolled: 2-line block ×4, first 2 shown]
	v_add_f64 v[24:25], v[28:29], v[24:25]
	v_add_f64 v[28:29], v[48:49], v[40:41]
	v_mul_f64 v[40:41], v[50:51], s[10:11]
	v_mul_f64 v[48:49], v[38:39], s[12:13]
	;; [unrolled: 1-line block ×36, first 2 shown]
	v_add_f64 v[24:25], v[24:25], v[46:47]
	v_add_f64 v[20:21], v[28:29], v[20:21]
	v_fma_f64 v[28:29], v[64:65], s[12:13], v[40:41]
	v_fma_f64 v[46:47], v[66:67], s[0:1], v[48:49]
	v_fma_f64 v[40:41], v[64:65], s[12:13], -v[40:41]
	v_fma_f64 v[48:49], v[66:67], s[10:11], v[48:49]
	v_fma_f64 v[160:161], v[64:65], s[14:15], v[84:85]
	;; [unrolled: 1-line block ×3, first 2 shown]
	v_fma_f64 v[84:85], v[64:65], s[14:15], -v[84:85]
	v_fma_f64 v[168:169], v[64:65], s[28:29], v[92:93]
	v_fma_f64 v[170:171], v[66:67], s[30:31], v[94:95]
	v_fma_f64 v[92:93], v[64:65], s[28:29], -v[92:93]
	v_fma_f64 v[94:95], v[66:67], s[26:27], v[94:95]
	v_fma_f64 v[174:175], v[66:67], s[38:39], v[98:99]
	;; [unrolled: 1-line block ×4, first 2 shown]
	v_mul_f64 v[140:141], v[82:83], s[26:27]
	v_mul_f64 v[142:143], v[78:79], s[28:29]
	v_fma_f64 v[86:87], v[66:67], s[8:9], v[86:87]
	v_fma_f64 v[164:165], v[64:65], s[20:21], v[88:89]
	;; [unrolled: 1-line block ×3, first 2 shown]
	v_fma_f64 v[88:89], v[64:65], s[20:21], -v[88:89]
	v_fma_f64 v[90:91], v[66:67], s[18:19], v[90:91]
	v_fma_f64 v[172:173], v[64:65], s[36:37], v[96:97]
	v_fma_f64 v[96:97], v[64:65], s[36:37], -v[96:97]
	v_fma_f64 v[98:99], v[66:67], s[24:25], v[98:99]
	v_fma_f64 v[176:177], v[64:65], s[42:43], v[50:51]
	v_fma_f64 v[50:51], v[64:65], s[42:43], -v[50:51]
	v_fma_f64 v[64:65], v[68:69], s[14:15], v[100:101]
	v_fma_f64 v[66:67], v[70:71], s[16:17], v[102:103]
	v_fma_f64 v[100:101], v[68:69], s[14:15], -v[100:101]
	v_fma_f64 v[102:103], v[70:71], s[8:9], v[102:103]
	v_fma_f64 v[180:181], v[68:69], s[28:29], v[104:105]
	v_fma_f64 v[182:183], v[70:71], s[30:31], v[106:107]
	v_fma_f64 v[104:105], v[68:69], s[28:29], -v[104:105]
	v_fma_f64 v[188:189], v[68:69], s[36:37], v[112:113]
	v_fma_f64 v[190:191], v[70:71], s[24:25], v[114:115]
	v_fma_f64 v[112:113], v[68:69], s[36:37], -v[112:113]
	v_add_f64 v[24:25], v[24:25], v[26:27]
	v_add_f64 v[20:21], v[20:21], v[22:23]
	v_fma_f64 v[22:23], v[70:71], s[38:39], v[114:115]
	v_fma_f64 v[114:115], v[70:71], s[18:19], v[118:119]
	v_add_f64 v[28:29], v[52:53], v[28:29]
	v_add_f64 v[46:47], v[54:55], v[46:47]
	v_fma_f64 v[194:195], v[70:71], s[10:11], v[58:59]
	v_fma_f64 v[58:59], v[70:71], s[0:1], v[58:59]
	v_add_f64 v[40:41], v[52:53], v[40:41]
	v_add_f64 v[48:49], v[54:55], v[48:49]
	;; [unrolled: 1-line block ×10, first 2 shown]
	v_mul_f64 v[144:145], v[82:83], s[38:39]
	v_mul_f64 v[146:147], v[78:79], s[36:37]
	;; [unrolled: 1-line block ×10, first 2 shown]
	v_fma_f64 v[106:107], v[70:71], s[26:27], v[106:107]
	v_fma_f64 v[184:185], v[68:69], s[42:43], v[108:109]
	;; [unrolled: 1-line block ×3, first 2 shown]
	v_fma_f64 v[108:109], v[68:69], s[42:43], -v[108:109]
	v_fma_f64 v[110:111], v[70:71], s[40:41], v[110:111]
	v_fma_f64 v[26:27], v[68:69], s[20:21], v[116:117]
	v_fma_f64 v[116:117], v[68:69], s[20:21], -v[116:117]
	v_fma_f64 v[118:119], v[70:71], s[22:23], v[118:119]
	v_fma_f64 v[192:193], v[68:69], s[12:13], v[56:57]
	v_fma_f64 v[56:57], v[68:69], s[12:13], -v[56:57]
	v_add_f64 v[24:25], v[24:25], v[30:31]
	v_add_f64 v[20:21], v[20:21], v[32:33]
	v_fma_f64 v[68:69], v[72:73], s[20:21], v[120:121]
	v_fma_f64 v[70:71], v[74:75], s[22:23], v[122:123]
	v_fma_f64 v[120:121], v[72:73], s[20:21], -v[120:121]
	v_fma_f64 v[122:123], v[74:75], s[18:19], v[122:123]
	v_add_f64 v[86:87], v[54:55], v[86:87]
	v_add_f64 v[164:165], v[52:53], v[164:165]
	;; [unrolled: 1-line block ×12, first 2 shown]
	v_fma_f64 v[52:53], v[72:73], s[42:43], v[124:125]
	v_fma_f64 v[54:55], v[74:75], s[34:35], v[126:127]
	v_fma_f64 v[124:125], v[72:73], s[42:43], -v[124:125]
	v_fma_f64 v[126:127], v[74:75], s[40:41], v[126:127]
	v_add_f64 v[28:29], v[64:65], v[28:29]
	v_fma_f64 v[64:65], v[72:73], s[28:29], v[128:129]
	v_add_f64 v[46:47], v[66:67], v[46:47]
	v_fma_f64 v[66:67], v[74:75], s[26:27], v[130:131]
	v_fma_f64 v[128:129], v[72:73], s[28:29], -v[128:129]
	v_fma_f64 v[130:131], v[74:75], s[30:31], v[130:131]
	v_add_f64 v[40:41], v[100:101], v[40:41]
	v_fma_f64 v[100:101], v[72:73], s[12:13], v[132:133]
	v_add_f64 v[48:49], v[102:103], v[48:49]
	;; [unrolled: 6-line block ×3, first 2 shown]
	v_fma_f64 v[182:183], v[74:75], s[16:17], v[138:139]
	v_add_f64 v[24:25], v[24:25], v[42:43]
	v_add_f64 v[20:21], v[20:21], v[44:45]
	v_fma_f64 v[136:137], v[72:73], s[14:15], -v[136:137]
	v_fma_f64 v[138:139], v[74:75], s[8:9], v[138:139]
	v_add_f64 v[84:85], v[104:105], v[84:85]
	v_fma_f64 v[104:105], v[72:73], s[36:37], v[34:35]
	v_add_f64 v[92:93], v[112:113], v[92:93]
	v_add_f64 v[22:23], v[22:23], v[94:95]
	;; [unrolled: 1-line block ×3, first 2 shown]
	v_fma_f64 v[112:113], v[74:75], s[38:39], v[36:37]
	v_fma_f64 v[34:35], v[72:73], s[36:37], -v[34:35]
	v_fma_f64 v[36:37], v[74:75], s[24:25], v[36:37]
	v_fma_f64 v[72:73], v[76:77], s[28:29], v[140:141]
	v_fma_f64 v[74:75], v[80:81], s[30:31], v[142:143]
	v_fma_f64 v[114:115], v[76:77], s[28:29], -v[140:141]
	v_fma_f64 v[140:141], v[80:81], s[26:27], v[142:143]
	v_add_f64 v[142:143], v[32:33], -v[16:17]
	v_add_f64 v[32:33], v[32:33], v[16:17]
	v_add_f64 v[178:179], v[194:195], v[178:179]
	;; [unrolled: 1-line block ×11, first 2 shown]
	v_fma_f64 v[166:167], v[76:77], s[36:37], v[144:145]
	v_fma_f64 v[168:169], v[80:81], s[24:25], v[146:147]
	v_fma_f64 v[144:145], v[76:77], s[36:37], -v[144:145]
	v_fma_f64 v[146:147], v[80:81], s[38:39], v[146:147]
	v_fma_f64 v[170:171], v[76:77], s[12:13], v[148:149]
	;; [unrolled: 1-line block ×3, first 2 shown]
	v_fma_f64 v[148:149], v[76:77], s[12:13], -v[148:149]
	v_fma_f64 v[150:151], v[80:81], s[0:1], v[150:151]
	v_fma_f64 v[174:175], v[76:77], s[20:21], v[152:153]
	;; [unrolled: 1-line block ×3, first 2 shown]
	v_add_f64 v[24:25], v[24:25], v[60:61]
	v_add_f64 v[20:21], v[20:21], v[62:63]
	v_fma_f64 v[152:153], v[76:77], s[20:21], -v[152:153]
	v_fma_f64 v[154:155], v[80:81], s[18:19], v[154:155]
	v_fma_f64 v[186:187], v[76:77], s[42:43], v[156:157]
	v_fma_f64 v[188:189], v[80:81], s[40:41], v[158:159]
	v_fma_f64 v[156:157], v[76:77], s[42:43], -v[156:157]
	v_fma_f64 v[158:159], v[80:81], s[34:35], v[158:159]
	v_fma_f64 v[190:191], v[76:77], s[14:15], v[82:83]
	v_fma_f64 v[76:77], v[76:77], s[14:15], -v[82:83]
	v_fma_f64 v[82:83], v[80:81], s[8:9], v[78:79]
	v_fma_f64 v[78:79], v[80:81], s[16:17], v[78:79]
	v_add_f64 v[80:81], v[44:45], -v[62:63]
	v_add_f64 v[44:45], v[44:45], v[62:63]
	v_add_f64 v[96:97], v[116:117], v[96:97]
	;; [unrolled: 1-line block ×3, first 2 shown]
	v_add_f64 v[30:31], v[30:31], -v[18:19]
	v_add_f64 v[98:99], v[118:119], v[98:99]
	v_add_f64 v[118:119], v[42:43], v[60:61]
	v_add_f64 v[42:43], v[42:43], -v[60:61]
	v_mul_f64 v[60:61], v[142:143], s[24:25]
	v_mul_f64 v[62:63], v[32:33], s[36:37]
	v_add_f64 v[176:177], v[192:193], v[176:177]
	v_mul_f64 v[194:195], v[32:33], s[20:21]
	v_add_f64 v[50:51], v[56:57], v[50:51]
	;; [unrolled: 2-line block ×5, first 2 shown]
	v_add_f64 v[52:53], v[52:53], v[160:161]
	v_mul_f64 v[160:161], v[32:33], s[12:13]
	v_mul_f64 v[32:33], v[32:33], s[28:29]
	v_add_f64 v[92:93], v[132:133], v[92:93]
	v_add_f64 v[112:113], v[112:113], v[178:179]
	;; [unrolled: 1-line block ×3, first 2 shown]
	v_mul_f64 v[192:193], v[142:143], s[22:23]
	v_add_f64 v[18:19], v[24:25], v[18:19]
	v_add_f64 v[16:17], v[20:21], v[16:17]
	v_mul_f64 v[56:57], v[142:143], s[8:9]
	v_add_f64 v[54:55], v[54:55], v[162:163]
	v_add_f64 v[84:85], v[124:125], v[84:85]
	;; [unrolled: 1-line block ×9, first 2 shown]
	v_mul_f64 v[162:163], v[80:81], s[40:41]
	v_mul_f64 v[124:125], v[44:45], s[42:43]
	;; [unrolled: 1-line block ×9, first 2 shown]
	v_fma_f64 v[110:111], v[116:117], s[36:37], v[60:61]
	v_fma_f64 v[132:133], v[30:31], s[38:39], v[62:63]
	;; [unrolled: 1-line block ×5, first 2 shown]
	v_add_f64 v[96:97], v[136:137], v[96:97]
	v_fma_f64 v[136:137], v[30:31], s[16:17], v[58:59]
	v_fma_f64 v[58:59], v[30:31], s[8:9], v[58:59]
	v_add_f64 v[98:99], v[138:139], v[98:99]
	v_fma_f64 v[138:139], v[116:117], s[42:43], v[68:69]
	v_add_f64 v[104:105], v[104:105], v[176:177]
	v_fma_f64 v[176:177], v[30:31], s[40:41], v[120:121]
	v_fma_f64 v[68:69], v[116:117], s[42:43], -v[68:69]
	v_fma_f64 v[120:121], v[30:31], s[34:35], v[120:121]
	v_add_f64 v[34:35], v[34:35], v[50:51]
	v_fma_f64 v[50:51], v[30:31], s[10:11], v[160:161]
	v_fma_f64 v[160:161], v[30:31], s[0:1], v[160:161]
	v_add_f64 v[14:15], v[18:19], v[14:15]
	v_fma_f64 v[18:19], v[30:31], s[30:31], v[32:33]
	v_add_f64 v[12:13], v[16:17], v[12:13]
	;; [unrolled: 2-line block ×3, first 2 shown]
	v_add_f64 v[28:29], v[72:73], v[28:29]
	v_add_f64 v[48:49], v[140:141], v[48:49]
	;; [unrolled: 1-line block ×5, first 2 shown]
	v_fma_f64 v[134:135], v[116:117], s[20:21], v[192:193]
	v_add_f64 v[94:95], v[182:183], v[94:95]
	v_fma_f64 v[182:183], v[116:117], s[14:15], v[56:57]
	v_fma_f64 v[32:33], v[118:119], s[42:43], v[162:163]
	v_add_f64 v[52:53], v[166:167], v[52:53]
	v_add_f64 v[64:65], v[170:171], v[64:65]
	;; [unrolled: 1-line block ×4, first 2 shown]
	v_fma_f64 v[112:113], v[118:119], s[14:15], -v[130:131]
	v_fma_f64 v[140:141], v[118:119], s[28:29], -v[24:25]
	v_fma_f64 v[148:149], v[42:43], s[18:19], v[44:45]
	v_fma_f64 v[44:45], v[42:43], s[22:23], v[44:45]
	v_add_f64 v[66:67], v[66:67], v[164:165]
	v_mul_f64 v[122:123], v[142:143], s[0:1]
	v_mul_f64 v[142:143], v[142:143], s[26:27]
	v_add_f64 v[86:87], v[126:127], v[86:87]
	v_mul_f64 v[126:127], v[80:81], s[0:1]
	v_add_f64 v[54:55], v[168:169], v[54:55]
	v_mul_f64 v[164:165], v[80:81], s[24:25]
	v_fma_f64 v[60:61], v[116:117], s[36:37], -v[60:61]
	v_add_f64 v[40:41], v[114:115], v[40:41]
	v_add_f64 v[100:101], v[174:175], v[100:101]
	v_add_f64 v[102:103], v[184:185], v[102:103]
	v_add_f64 v[26:27], v[186:187], v[26:27]
	v_mul_f64 v[80:81], v[80:81], s[22:23]
	v_add_f64 v[34:35], v[76:77], v[34:35]
	v_add_f64 v[76:77], v[158:159], v[98:99]
	v_fma_f64 v[98:99], v[42:43], s[8:9], v[108:109]
	v_add_f64 v[10:11], v[14:15], v[10:11]
	v_fma_f64 v[192:193], v[116:117], s[20:21], -v[192:193]
	v_add_f64 v[8:9], v[12:13], v[8:9]
	v_fma_f64 v[56:57], v[116:117], s[14:15], -v[56:57]
	v_add_f64 v[12:13], v[74:75], v[30:31]
	v_fma_f64 v[74:75], v[42:43], s[16:17], v[108:109]
	v_fma_f64 v[108:109], v[118:119], s[28:29], v[24:25]
	v_add_f64 v[14:15], v[110:111], v[28:29]
	v_add_f64 v[24:25], v[62:63], v[48:49]
	;; [unrolled: 1-line block ×13, first 2 shown]
	v_fma_f64 v[46:47], v[118:119], s[42:43], -v[162:163]
	v_fma_f64 v[162:163], v[42:43], s[10:11], v[106:107]
	v_add_f64 v[66:67], v[172:173], v[66:67]
	v_fma_f64 v[178:179], v[116:117], s[12:13], v[122:123]
	v_fma_f64 v[38:39], v[116:117], s[28:29], v[142:143]
	v_fma_f64 v[122:123], v[116:117], s[12:13], -v[122:123]
	v_fma_f64 v[116:117], v[116:117], s[28:29], -v[142:143]
	v_add_f64 v[86:87], v[146:147], v[86:87]
	v_fma_f64 v[142:143], v[118:119], s[12:13], v[126:127]
	v_add_f64 v[30:31], v[180:181], v[54:55]
	v_fma_f64 v[72:73], v[118:119], s[36:37], v[164:165]
	v_fma_f64 v[114:115], v[42:43], s[38:39], v[128:129]
	;; [unrolled: 1-line block ×5, first 2 shown]
	v_add_f64 v[20:21], v[60:61], v[40:41]
	v_add_f64 v[58:59], v[138:139], v[100:101]
	;; [unrolled: 1-line block ×3, first 2 shown]
	v_fma_f64 v[70:71], v[42:43], s[40:41], v[124:125]
	v_fma_f64 v[164:165], v[118:119], s[36:37], -v[164:165]
	v_add_f64 v[90:91], v[8:9], v[4:5]
	v_fma_f64 v[146:147], v[118:119], s[20:21], v[80:81]
	v_add_f64 v[56:57], v[56:57], v[88:89]
	v_fma_f64 v[80:81], v[118:119], s[20:21], -v[80:81]
	v_add_f64 v[76:77], v[160:161], v[76:77]
	v_add_f64 v[4:5], v[32:33], v[14:15]
	v_fma_f64 v[126:127], v[118:119], s[12:13], -v[126:127]
	v_add_f64 v[32:33], v[112:113], v[62:63]
	v_fma_f64 v[88:89], v[42:43], s[0:1], v[106:107]
	v_add_f64 v[62:63], v[44:45], v[82:83]
	scratch_load_b32 v45, off, off offset:212 ; 4-byte Folded Reload
	v_add_f64 v[50:51], v[50:51], v[94:95]
	v_add_f64 v[40:41], v[192:193], v[84:85]
	v_add_f64 v[6:7], v[10:11], v[6:7]
	v_add_f64 v[92:93], v[132:133], v[12:13]
	s_mul_i32 s1, s5, 0x410
	s_mul_i32 s0, s4, 0x410
	v_add_f64 v[54:55], v[136:137], v[66:67]
	v_add_f64 v[26:27], v[178:179], v[26:27]
	;; [unrolled: 1-line block ×7, first 2 shown]
	v_fma_f64 v[86:87], v[42:43], s[24:25], v[128:129]
	v_fma_f64 v[42:43], v[42:43], s[34:35], v[124:125]
	v_add_f64 v[12:13], v[142:143], v[28:29]
	v_add_f64 v[14:15], v[162:163], v[30:31]
	;; [unrolled: 1-line block ×11, first 2 shown]
	v_mad_u64_u32 v[40:41], null, s6, v208, 0
	v_add_f64 v[22:23], v[114:115], v[54:55]
	v_add_f64 v[36:37], v[108:109], v[26:27]
	;; [unrolled: 1-line block ×12, first 2 shown]
	ds_store_b128 v255, v[12:15] offset:2080
	ds_store_b128 v255, v[20:23] offset:3120
	;; [unrolled: 1-line block ×11, first 2 shown]
	ds_store_b128 v255, v[64:67]
	ds_store_b128 v255, v[4:7] offset:1040
	s_waitcnt vmcnt(0) lgkmcnt(0)
	s_barrier
	buffer_gl0_inv
	ds_load_b128 v[8:11], v255 offset:2080
	ds_load_b128 v[4:7], v255 offset:1040
	v_mad_u64_u32 v[42:43], null, s4, v45, 0
	s_delay_alu instid0(VALU_DEP_1) | instskip(NEXT) | instid1(VALU_DEP_1)
	v_dual_mov_b32 v0, v41 :: v_dual_mov_b32 v1, v43
	v_mad_u64_u32 v[2:3], null, s7, v208, v[0:1]
	s_delay_alu instid0(VALU_DEP_1)
	v_mov_b32_e32 v41, v2
	v_mad_u64_u32 v[43:44], null, s5, v45, v[1:2]
	ds_load_b128 v[0:3], v255
	ds_load_b128 v[12:15], v255 offset:3120
	ds_load_b128 v[16:19], v255 offset:4160
	;; [unrolled: 1-line block ×4, first 2 shown]
	v_lshlrev_b64 v[28:29], 4, v[40:41]
	s_mul_hi_u32 s5, s4, 0x410
	s_delay_alu instid0(SALU_CYCLE_1) | instskip(SKIP_1) | instid1(VALU_DEP_2)
	s_add_i32 s1, s5, s1
	v_lshlrev_b64 v[40:41], 4, v[42:43]
	v_add_co_u32 v82, vcc_lo, s2, v28
	s_delay_alu instid0(VALU_DEP_3)
	v_add_co_ci_u32_e32 v83, vcc_lo, s3, v29, vcc_lo
	ds_load_b128 v[28:31], v255 offset:7280
	ds_load_b128 v[32:35], v255 offset:8320
	;; [unrolled: 1-line block ×6, first 2 shown]
	s_clause 0x1
	scratch_load_b128 v[114:117], off, off offset:20
	scratch_load_b128 v[110:113], off, off offset:4
	v_add_co_u32 v82, vcc_lo, v82, v40
	v_add_co_ci_u32_e32 v83, vcc_lo, v83, v41, vcc_lo
	s_mov_b32 s2, 0x622898b1
	s_delay_alu instid0(VALU_DEP_2) | instskip(NEXT) | instid1(VALU_DEP_2)
	v_add_co_u32 v106, vcc_lo, v82, s0
	v_add_co_ci_u32_e32 v107, vcc_lo, s1, v83, vcc_lo
	s_mov_b32 s3, 0x3f5363ac
	s_delay_alu instid0(VALU_DEP_2) | instskip(NEXT) | instid1(VALU_DEP_2)
	v_add_co_u32 v108, vcc_lo, v106, s0
	v_add_co_ci_u32_e32 v109, vcc_lo, s1, v107, vcc_lo
	s_waitcnt vmcnt(1) lgkmcnt(10)
	v_mul_f64 v[42:43], v[116:117], v[2:3]
	v_mul_f64 v[44:45], v[116:117], v[0:1]
	scratch_load_b128 v[116:119], off, off offset:36 ; 16-byte Folded Reload
	s_waitcnt vmcnt(1)
	v_mul_f64 v[46:47], v[112:113], v[6:7]
	v_mul_f64 v[48:49], v[112:113], v[4:5]
	v_fma_f64 v[0:1], v[114:115], v[0:1], v[42:43]
	v_fma_f64 v[2:3], v[114:115], v[2:3], -v[44:45]
	s_delay_alu instid0(VALU_DEP_4) | instskip(NEXT) | instid1(VALU_DEP_4)
	v_fma_f64 v[4:5], v[110:111], v[4:5], v[46:47]
	v_fma_f64 v[6:7], v[110:111], v[6:7], -v[48:49]
	s_delay_alu instid0(VALU_DEP_4) | instskip(NEXT) | instid1(VALU_DEP_4)
	v_mul_f64 v[0:1], v[0:1], s[2:3]
	v_mul_f64 v[2:3], v[2:3], s[2:3]
	s_delay_alu instid0(VALU_DEP_4) | instskip(NEXT) | instid1(VALU_DEP_4)
	v_mul_f64 v[4:5], v[4:5], s[2:3]
	v_mul_f64 v[6:7], v[6:7], s[2:3]
	s_waitcnt vmcnt(0)
	v_mul_f64 v[50:51], v[118:119], v[10:11]
	v_mul_f64 v[64:65], v[118:119], v[8:9]
	scratch_load_b128 v[118:121], off, off offset:52 ; 16-byte Folded Reload
	v_fma_f64 v[8:9], v[116:117], v[8:9], v[50:51]
	v_fma_f64 v[10:11], v[116:117], v[10:11], -v[64:65]
	v_add_co_u32 v64, vcc_lo, v108, s0
	v_add_co_ci_u32_e32 v65, vcc_lo, s1, v109, vcc_lo
	s_delay_alu instid0(VALU_DEP_4) | instskip(NEXT) | instid1(VALU_DEP_4)
	v_mul_f64 v[8:9], v[8:9], s[2:3]
	v_mul_f64 v[10:11], v[10:11], s[2:3]
	s_waitcnt vmcnt(0) lgkmcnt(9)
	v_mul_f64 v[66:67], v[120:121], v[14:15]
	v_mul_f64 v[68:69], v[120:121], v[12:13]
	scratch_load_b128 v[120:123], off, off offset:68 ; 16-byte Folded Reload
	v_fma_f64 v[12:13], v[118:119], v[12:13], v[66:67]
	v_fma_f64 v[14:15], v[118:119], v[14:15], -v[68:69]
	s_delay_alu instid0(VALU_DEP_2) | instskip(NEXT) | instid1(VALU_DEP_2)
	v_mul_f64 v[12:13], v[12:13], s[2:3]
	v_mul_f64 v[14:15], v[14:15], s[2:3]
	s_waitcnt vmcnt(0) lgkmcnt(8)
	v_mul_f64 v[70:71], v[122:123], v[18:19]
	v_mul_f64 v[72:73], v[122:123], v[16:17]
	scratch_load_b128 v[122:125], off, off offset:84 ; 16-byte Folded Reload
	v_fma_f64 v[16:17], v[120:121], v[16:17], v[70:71]
	v_fma_f64 v[18:19], v[120:121], v[18:19], -v[72:73]
	s_delay_alu instid0(VALU_DEP_2) | instskip(NEXT) | instid1(VALU_DEP_2)
	;; [unrolled: 9-line block ×7, first 2 shown]
	v_mul_f64 v[36:37], v[36:37], s[2:3]
	v_mul_f64 v[38:39], v[38:39], s[2:3]
	s_waitcnt vmcnt(0) lgkmcnt(2)
	v_mul_f64 v[94:95], v[134:135], v[54:55]
	v_mul_f64 v[96:97], v[134:135], v[52:53]
	scratch_load_b128 v[134:137], off, off offset:180 ; 16-byte Folded Reload
	v_fma_f64 v[40:41], v[132:133], v[52:53], v[94:95]
	v_fma_f64 v[42:43], v[132:133], v[54:55], -v[96:97]
	v_add_co_u32 v52, vcc_lo, v64, s0
	v_add_co_ci_u32_e32 v53, vcc_lo, s1, v65, vcc_lo
	s_delay_alu instid0(VALU_DEP_2) | instskip(NEXT) | instid1(VALU_DEP_2)
	v_add_co_u32 v54, vcc_lo, v52, s0
	v_add_co_ci_u32_e32 v55, vcc_lo, s1, v53, vcc_lo
	v_mul_f64 v[40:41], v[40:41], s[2:3]
	v_mul_f64 v[42:43], v[42:43], s[2:3]
	s_waitcnt vmcnt(0) lgkmcnt(1)
	v_mul_f64 v[98:99], v[136:137], v[58:59]
	v_mul_f64 v[100:101], v[136:137], v[56:57]
	scratch_load_b128 v[136:139], off, off offset:196 ; 16-byte Folded Reload
	s_clause 0x4
	global_store_b128 v[82:83], v[0:3], off
	global_store_b128 v[106:107], v[4:7], off
	;; [unrolled: 1-line block ×6, first 2 shown]
	v_fma_f64 v[44:45], v[134:135], v[56:57], v[98:99]
	v_fma_f64 v[46:47], v[134:135], v[58:59], -v[100:101]
	v_add_co_u32 v56, vcc_lo, v54, s0
	v_add_co_ci_u32_e32 v57, vcc_lo, s1, v55, vcc_lo
	s_delay_alu instid0(VALU_DEP_2) | instskip(NEXT) | instid1(VALU_DEP_2)
	v_add_co_u32 v58, vcc_lo, v56, s0
	v_add_co_ci_u32_e32 v59, vcc_lo, s1, v57, vcc_lo
	global_store_b128 v[56:57], v[24:27], off
	global_store_b128 v[58:59], v[28:31], off
	v_mul_f64 v[44:45], v[44:45], s[2:3]
	v_mul_f64 v[46:47], v[46:47], s[2:3]
	s_waitcnt vmcnt(0) lgkmcnt(0)
	v_mul_f64 v[102:103], v[138:139], v[62:63]
	v_mul_f64 v[104:105], v[138:139], v[60:61]
	s_delay_alu instid0(VALU_DEP_2) | instskip(NEXT) | instid1(VALU_DEP_2)
	v_fma_f64 v[48:49], v[136:137], v[60:61], v[102:103]
	v_fma_f64 v[50:51], v[136:137], v[62:63], -v[104:105]
	v_add_co_u32 v60, vcc_lo, v58, s0
	v_add_co_ci_u32_e32 v61, vcc_lo, s1, v59, vcc_lo
	s_delay_alu instid0(VALU_DEP_2) | instskip(NEXT) | instid1(VALU_DEP_2)
	v_add_co_u32 v62, vcc_lo, v60, s0
	v_add_co_ci_u32_e32 v63, vcc_lo, s1, v61, vcc_lo
	s_delay_alu instid0(VALU_DEP_2) | instskip(NEXT) | instid1(VALU_DEP_2)
	;; [unrolled: 3-line block ×4, first 2 shown]
	v_add_co_u32 v4, vcc_lo, v2, s0
	v_add_co_ci_u32_e32 v5, vcc_lo, s1, v3, vcc_lo
	v_mul_f64 v[48:49], v[48:49], s[2:3]
	v_mul_f64 v[50:51], v[50:51], s[2:3]
	global_store_b128 v[60:61], v[32:35], off
	global_store_b128 v[62:63], v[36:39], off
	;; [unrolled: 1-line block ×5, first 2 shown]
.LBB0_10:
	s_nop 0
	s_sendmsg sendmsg(MSG_DEALLOC_VGPRS)
	s_endpgm
	.section	.rodata,"a",@progbits
	.p2align	6, 0x0
	.amdhsa_kernel bluestein_single_back_len845_dim1_dp_op_CI_CI
		.amdhsa_group_segment_fixed_size 40560
		.amdhsa_private_segment_fixed_size 292
		.amdhsa_kernarg_size 104
		.amdhsa_user_sgpr_count 15
		.amdhsa_user_sgpr_dispatch_ptr 0
		.amdhsa_user_sgpr_queue_ptr 0
		.amdhsa_user_sgpr_kernarg_segment_ptr 1
		.amdhsa_user_sgpr_dispatch_id 0
		.amdhsa_user_sgpr_private_segment_size 0
		.amdhsa_wavefront_size32 1
		.amdhsa_uses_dynamic_stack 0
		.amdhsa_enable_private_segment 1
		.amdhsa_system_sgpr_workgroup_id_x 1
		.amdhsa_system_sgpr_workgroup_id_y 0
		.amdhsa_system_sgpr_workgroup_id_z 0
		.amdhsa_system_sgpr_workgroup_info 0
		.amdhsa_system_vgpr_workitem_id 0
		.amdhsa_next_free_vgpr 256
		.amdhsa_next_free_sgpr 46
		.amdhsa_reserve_vcc 1
		.amdhsa_float_round_mode_32 0
		.amdhsa_float_round_mode_16_64 0
		.amdhsa_float_denorm_mode_32 3
		.amdhsa_float_denorm_mode_16_64 3
		.amdhsa_dx10_clamp 1
		.amdhsa_ieee_mode 1
		.amdhsa_fp16_overflow 0
		.amdhsa_workgroup_processor_mode 1
		.amdhsa_memory_ordered 1
		.amdhsa_forward_progress 0
		.amdhsa_shared_vgpr_count 0
		.amdhsa_exception_fp_ieee_invalid_op 0
		.amdhsa_exception_fp_denorm_src 0
		.amdhsa_exception_fp_ieee_div_zero 0
		.amdhsa_exception_fp_ieee_overflow 0
		.amdhsa_exception_fp_ieee_underflow 0
		.amdhsa_exception_fp_ieee_inexact 0
		.amdhsa_exception_int_div_zero 0
	.end_amdhsa_kernel
	.text
.Lfunc_end0:
	.size	bluestein_single_back_len845_dim1_dp_op_CI_CI, .Lfunc_end0-bluestein_single_back_len845_dim1_dp_op_CI_CI
                                        ; -- End function
	.section	.AMDGPU.csdata,"",@progbits
; Kernel info:
; codeLenInByte = 25892
; NumSgprs: 48
; NumVgprs: 256
; ScratchSize: 292
; MemoryBound: 0
; FloatMode: 240
; IeeeMode: 1
; LDSByteSize: 40560 bytes/workgroup (compile time only)
; SGPRBlocks: 5
; VGPRBlocks: 31
; NumSGPRsForWavesPerEU: 48
; NumVGPRsForWavesPerEU: 256
; Occupancy: 5
; WaveLimiterHint : 1
; COMPUTE_PGM_RSRC2:SCRATCH_EN: 1
; COMPUTE_PGM_RSRC2:USER_SGPR: 15
; COMPUTE_PGM_RSRC2:TRAP_HANDLER: 0
; COMPUTE_PGM_RSRC2:TGID_X_EN: 1
; COMPUTE_PGM_RSRC2:TGID_Y_EN: 0
; COMPUTE_PGM_RSRC2:TGID_Z_EN: 0
; COMPUTE_PGM_RSRC2:TIDIG_COMP_CNT: 0
	.text
	.p2alignl 7, 3214868480
	.fill 96, 4, 3214868480
	.type	__hip_cuid_920b4d88123ff97,@object ; @__hip_cuid_920b4d88123ff97
	.section	.bss,"aw",@nobits
	.globl	__hip_cuid_920b4d88123ff97
__hip_cuid_920b4d88123ff97:
	.byte	0                               ; 0x0
	.size	__hip_cuid_920b4d88123ff97, 1

	.ident	"AMD clang version 19.0.0git (https://github.com/RadeonOpenCompute/llvm-project roc-6.4.0 25133 c7fe45cf4b819c5991fe208aaa96edf142730f1d)"
	.section	".note.GNU-stack","",@progbits
	.addrsig
	.addrsig_sym __hip_cuid_920b4d88123ff97
	.amdgpu_metadata
---
amdhsa.kernels:
  - .args:
      - .actual_access:  read_only
        .address_space:  global
        .offset:         0
        .size:           8
        .value_kind:     global_buffer
      - .actual_access:  read_only
        .address_space:  global
        .offset:         8
        .size:           8
        .value_kind:     global_buffer
      - .actual_access:  read_only
        .address_space:  global
        .offset:         16
        .size:           8
        .value_kind:     global_buffer
      - .actual_access:  read_only
        .address_space:  global
        .offset:         24
        .size:           8
        .value_kind:     global_buffer
      - .actual_access:  read_only
        .address_space:  global
        .offset:         32
        .size:           8
        .value_kind:     global_buffer
      - .offset:         40
        .size:           8
        .value_kind:     by_value
      - .address_space:  global
        .offset:         48
        .size:           8
        .value_kind:     global_buffer
      - .address_space:  global
        .offset:         56
        .size:           8
        .value_kind:     global_buffer
      - .address_space:  global
        .offset:         64
        .size:           8
        .value_kind:     global_buffer
      - .address_space:  global
        .offset:         72
        .size:           8
        .value_kind:     global_buffer
      - .offset:         80
        .size:           4
        .value_kind:     by_value
      - .address_space:  global
        .offset:         88
        .size:           8
        .value_kind:     global_buffer
      - .address_space:  global
        .offset:         96
        .size:           8
        .value_kind:     global_buffer
    .group_segment_fixed_size: 40560
    .kernarg_segment_align: 8
    .kernarg_segment_size: 104
    .language:       OpenCL C
    .language_version:
      - 2
      - 0
    .max_flat_workgroup_size: 195
    .name:           bluestein_single_back_len845_dim1_dp_op_CI_CI
    .private_segment_fixed_size: 292
    .sgpr_count:     48
    .sgpr_spill_count: 0
    .symbol:         bluestein_single_back_len845_dim1_dp_op_CI_CI.kd
    .uniform_work_group_size: 1
    .uses_dynamic_stack: false
    .vgpr_count:     256
    .vgpr_spill_count: 72
    .wavefront_size: 32
    .workgroup_processor_mode: 1
amdhsa.target:   amdgcn-amd-amdhsa--gfx1100
amdhsa.version:
  - 1
  - 2
...

	.end_amdgpu_metadata
